;; amdgpu-corpus repo=ROCm/rocFFT kind=compiled arch=gfx950 opt=O3
	.text
	.amdgcn_target "amdgcn-amd-amdhsa--gfx950"
	.amdhsa_code_object_version 6
	.protected	bluestein_single_back_len1386_dim1_sp_op_CI_CI ; -- Begin function bluestein_single_back_len1386_dim1_sp_op_CI_CI
	.globl	bluestein_single_back_len1386_dim1_sp_op_CI_CI
	.p2align	8
	.type	bluestein_single_back_len1386_dim1_sp_op_CI_CI,@function
bluestein_single_back_len1386_dim1_sp_op_CI_CI: ; @bluestein_single_back_len1386_dim1_sp_op_CI_CI
; %bb.0:
	s_load_dwordx4 s[8:11], s[0:1], 0x28
	v_mul_u32_u24_e32 v1, 0x11c, v0
	v_mov_b32_e32 v65, 0
	v_add_u32_sdwa v66, s2, v1 dst_sel:DWORD dst_unused:UNUSED_PAD src0_sel:DWORD src1_sel:WORD_1
	v_mov_b32_e32 v67, v65
	s_waitcnt lgkmcnt(0)
	v_cmp_gt_u64_e32 vcc, s[8:9], v[66:67]
	s_and_saveexec_b64 s[2:3], vcc
	s_cbranch_execz .LBB0_24
; %bb.1:
	s_load_dwordx4 s[4:7], s[0:1], 0x18
	s_load_dwordx4 s[12:15], s[0:1], 0x0
	v_mov_b32_e32 v2, s10
	v_mov_b32_e32 v3, s11
	s_movk_i32 s2, 0xe7
	s_waitcnt lgkmcnt(0)
	s_load_dwordx4 s[8:11], s[4:5], 0x0
	v_mul_lo_u16_sdwa v1, v1, s2 dst_sel:DWORD dst_unused:UNUSED_PAD src0_sel:WORD_1 src1_sel:DWORD
	v_sub_u16_e32 v64, v0, v1
	v_mov_b32_e32 v16, 0x15a8
	v_lshlrev_b32_e32 v76, 3, v64
	s_waitcnt lgkmcnt(0)
	v_mad_u64_u32 v[0:1], s[2:3], s10, v66, 0
	v_mov_b32_e32 v4, v1
	v_mad_u64_u32 v[4:5], s[2:3], s11, v66, v[4:5]
	v_mov_b32_e32 v1, v4
	v_mad_u64_u32 v[4:5], s[2:3], s8, v64, 0
	v_mov_b32_e32 v6, v5
	v_mad_u64_u32 v[6:7], s[2:3], s9, v64, v[6:7]
	v_mov_b32_e32 v5, v6
	v_lshl_add_u64 v[0:1], v[0:1], 3, v[2:3]
	v_lshl_add_u64 v[0:1], v[4:5], 3, v[0:1]
	global_load_dwordx2 v[2:3], v[0:1], off
	v_mov_b32_e32 v77, v65
	v_mad_u64_u32 v[0:1], s[2:3], s8, v16, v[0:1]
	s_mul_i32 s4, s9, 0x15a8
	v_lshl_add_u64 v[4:5], s[12:13], 0, v[76:77]
	v_add_u32_e32 v1, s4, v1
	s_movk_i32 s2, 0x1000
	v_mov_b32_e32 v12, 0xfffff190
	global_load_dwordx2 v[6:7], v[0:1], off
	v_add_co_u32_e32 v8, vcc, s2, v4
	v_mad_u64_u32 v[0:1], s[2:3], s8, v12, v[0:1]
	s_mul_i32 s2, s9, 0xfffff190
	s_sub_i32 s5, s2, s8
	v_add_u32_e32 v1, s5, v1
	v_mad_u64_u32 v[10:11], s[2:3], s8, v16, v[0:1]
	v_addc_co_u32_e32 v9, vcc, 0, v5, vcc
	v_add_u32_e32 v11, s4, v11
	global_load_dwordx2 v[80:81], v76, s[12:13]
	global_load_dwordx2 v[74:75], v76, s[12:13] offset:1848
	global_load_dwordx2 v[78:79], v[8:9], off offset:1448
	global_load_dwordx2 v[70:71], v[8:9], off offset:3296
	v_mad_u64_u32 v[8:9], s[2:3], s8, v12, v[10:11]
	v_add_u32_e32 v9, s5, v9
	global_load_dwordx2 v[0:1], v[0:1], off
	s_nop 0
	global_load_dwordx2 v[12:13], v[10:11], off
	global_load_dwordx2 v[14:15], v[8:9], off
	global_load_dwordx2 v[68:69], v76, s[12:13] offset:3696
	v_mad_u64_u32 v[8:9], s[2:3], s8, v16, v[8:9]
	s_movk_i32 s2, 0x2000
	s_nop 0
	v_add_co_u32_e32 v4, vcc, s2, v4
	v_add_u32_e32 v9, s4, v9
	s_nop 0
	v_addc_co_u32_e32 v5, vcc, 0, v5, vcc
	global_load_dwordx2 v[72:73], v[4:5], off offset:1048
	global_load_dwordx2 v[10:11], v[8:9], off
	v_add_u32_e32 v8, 0x1c80, v76
	v_add_u32_e32 v9, 0xe00, v76
	s_load_dwordx4 s[8:11], s[6:7], 0x0
	s_load_dwordx2 s[16:17], s[0:1], 0x38
	s_mov_b64 s[0:1], 0xe7
	v_lshl_add_u64 v[20:21], v[64:65], 0, s[0:1]
	s_movk_i32 s0, 0xc6
	v_cmp_gt_u16_e32 vcc, s0, v64
	s_movk_i32 s0, 0xc5
	v_lshlrev_b32_e32 v67, 4, v64
	v_lshlrev_b32_e32 v77, 4, v20
	v_cmp_lt_u16_e64 s[2:3], s0, v64
                                        ; implicit-def: $vgpr26_vgpr27
                                        ; implicit-def: $vgpr30_vgpr31
                                        ; implicit-def: $vgpr28_vgpr29
	s_waitcnt vmcnt(9)
	v_mul_f32_e32 v4, v3, v81
	v_mul_f32_e32 v5, v2, v81
	v_fmac_f32_e32 v4, v2, v80
	v_fma_f32 v5, v3, v80, -v5
	s_waitcnt vmcnt(7)
	v_mul_f32_e32 v2, v7, v79
	v_mul_f32_e32 v3, v6, v79
	v_fmac_f32_e32 v2, v6, v78
	v_fma_f32 v3, v7, v78, -v3
	ds_write_b64 v76, v[2:3] offset:5544
	s_waitcnt vmcnt(5)
	v_mul_f32_e32 v2, v1, v75
	v_mul_f32_e32 v3, v0, v75
	v_fmac_f32_e32 v2, v0, v74
	v_fma_f32 v3, v1, v74, -v3
	ds_write2_b64 v76, v[4:5], v[2:3] offset1:231
	s_waitcnt vmcnt(2)
	v_mul_f32_e32 v2, v15, v69
	v_mul_f32_e32 v3, v14, v69
	v_fmac_f32_e32 v2, v14, v68
	v_fma_f32 v3, v15, v68, -v3
	v_mul_f32_e32 v0, v13, v71
	v_mul_f32_e32 v1, v12, v71
	ds_write_b64 v76, v[2:3] offset:3696
	s_waitcnt vmcnt(0)
	v_mul_f32_e32 v2, v11, v73
	v_mul_f32_e32 v3, v10, v73
	v_fmac_f32_e32 v0, v12, v70
	v_fma_f32 v1, v13, v70, -v1
	v_fmac_f32_e32 v2, v10, v72
	v_fma_f32 v3, v11, v72, -v3
	ds_write2_b64 v8, v[0:1], v[2:3] offset0:12 offset1:243
	s_waitcnt lgkmcnt(0)
	s_barrier
	ds_read2_b64 v[0:3], v8 offset0:12 offset1:243
	ds_read2_b64 v[4:7], v9 offset0:14 offset1:245
	ds_read2_b64 v[8:11], v76 offset1:231
	s_waitcnt lgkmcnt(0)
	s_barrier
	v_mov_b32_e32 v12, v0
	v_mov_b32_e32 v13, v7
	;; [unrolled: 1-line block ×6, first 2 shown]
	v_pk_add_f32 v[24:25], v[6:7], v[12:13] neg_lo:[0,1] neg_hi:[0,1]
	v_mov_b32_e32 v6, v11
	v_mov_b32_e32 v7, v8
	v_pk_add_f32 v[22:23], v[6:7], v[0:1] neg_lo:[0,1] neg_hi:[0,1]
	v_mov_b32_e32 v1, v25
	v_mov_b32_e32 v0, v23
	v_pk_fma_f32 v[8:9], v[8:9], 2.0, v[0:1] op_sel_hi:[1,0,1] neg_lo:[0,0,1] neg_hi:[0,0,1]
	v_mov_b32_e32 v0, v24
	v_mov_b32_e32 v1, v22
	v_pk_add_f32 v[18:19], v[4:5], v[2:3] neg_lo:[0,1] neg_hi:[0,1]
	v_pk_fma_f32 v[12:13], v[10:11], 2.0, v[0:1] op_sel_hi:[1,0,1] neg_lo:[0,0,1] neg_hi:[0,0,1]
	v_mov_b32_e32 v10, v23
	v_mov_b32_e32 v11, v25
	;; [unrolled: 1-line block ×4, first 2 shown]
	v_pk_fma_f32 v[16:17], v[4:5], 2.0, v[18:19] op_sel_hi:[1,0,1] neg_lo:[0,0,1] neg_hi:[0,0,1]
	ds_write_b128 v67, v[8:11]
	ds_write_b128 v77, v[12:15]
	ds_write_b128 v67, v[16:19] offset:7392
	s_waitcnt lgkmcnt(0)
	s_barrier
	s_waitcnt lgkmcnt(0)
                                        ; implicit-def: $vgpr14_vgpr15
	s_and_saveexec_b64 s[0:1], s[2:3]
	s_xor_b64 s[0:1], exec, s[0:1]
; %bb.2:
	v_mov_b32_e32 v14, v17
	v_mov_b64_e32 v[26:27], v[16:17]
	v_mov_b64_e32 v[30:31], v[22:23]
	;; [unrolled: 1-line block ×3, first 2 shown]
; %bb.3:
	s_andn2_saveexec_b64 s[0:1], s[0:1]
	s_cbranch_execz .LBB0_5
; %bb.4:
	v_add_u32_e32 v0, 0xc00, v76
	ds_read2_b64 v[12:15], v0 offset0:12 offset1:210
	ds_read2_b64 v[8:11], v76 offset1:198
	v_add_u32_e32 v2, 0x1800, v76
	ds_read_b64 v[0:1], v76 offset:9504
	ds_read2_b64 v[16:19], v2 offset0:24 offset1:222
	s_waitcnt lgkmcnt(3)
	v_mov_b32_e32 v28, v14
	s_waitcnt lgkmcnt(2)
	v_mov_b32_e32 v29, v11
	v_mov_b32_e32 v30, v15
	;; [unrolled: 1-line block ×3, first 2 shown]
	s_waitcnt lgkmcnt(0)
	v_mov_b32_e32 v26, v16
	v_mov_b32_e32 v27, v1
	;; [unrolled: 1-line block ×7, first 2 shown]
.LBB0_5:
	s_or_b64 exec, exec, s[0:1]
	v_and_b32_e32 v65, 1, v64
	v_mul_u32_u24_e32 v0, 6, v65
	v_lshlrev_b32_e32 v10, 3, v0
	global_load_dwordx4 v[32:35], v10, s[14:15] offset:16
	global_load_dwordx4 v[4:7], v10, s[14:15]
	global_load_dwordx4 v[0:3], v10, s[14:15] offset:32
	v_mov_b32_e32 v36, v13
	v_mov_b32_e32 v37, v30
	;; [unrolled: 1-line block ×8, first 2 shown]
	s_mov_b32 s4, 0x3d64c772
	s_mov_b32 s5, 0x3f4a47b2
	;; [unrolled: 1-line block ×9, first 2 shown]
	v_mov_b32_e32 v11, 0
	v_lshrrev_b32_e32 v200, 1, v64
	s_barrier
	s_waitcnt vmcnt(2)
	v_mov_b32_e32 v82, v34
	s_waitcnt vmcnt(1)
	v_mov_b32_e32 v84, v7
	v_mov_b32_e32 v85, v32
	;; [unrolled: 1-line block ×3, first 2 shown]
	s_waitcnt vmcnt(0)
	v_mov_b32_e32 v87, v0
	v_mul_f32_e32 v10, v25, v5
	v_mul_f32_e32 v22, v12, v7
	;; [unrolled: 1-line block ×3, first 2 shown]
	v_mov_b32_e32 v90, v33
	v_mov_b32_e32 v91, v5
	;; [unrolled: 1-line block ×9, first 2 shown]
	v_pk_mul_f32 v[30:31], v[30:31], v[90:91]
	v_fmac_f32_e32 v22, v13, v6
	v_mov_b32_e32 v13, v28
	v_pk_mul_f32 v[34:35], v[36:37], v[84:85]
	v_fma_f32 v37, v15, v2, -v25
	v_pk_mul_f32 v[38:39], v[38:39], v[86:87]
	v_mov_b32_e32 v33, v82
	v_pk_mul_f32 v[14:15], v[14:15], v[92:93]
	v_mul_f32_e32 v24, v19, v0
	v_pk_fma_f32 v[44:45], v[28:29], v[16:17], v[30:31]
	v_pk_fma_f32 v[28:29], v[28:29], v[16:17], v[30:31] neg_lo:[0,0,1] neg_hi:[0,0,1]
	v_pk_fma_f32 v[30:31], v[12:13], v[6:7], v[34:35] neg_lo:[0,0,1] neg_hi:[0,0,1]
	v_pk_fma_f32 v[12:13], v[20:21], v[6:7], v[34:35]
	v_pk_fma_f32 v[16:17], v[40:41], v[32:33], v[38:39] op_sel:[0,0,1] op_sel_hi:[1,1,0]
	v_pk_fma_f32 v[32:33], v[42:43], v[32:33], v[38:39] op_sel:[0,0,1] op_sel_hi:[1,1,0] neg_lo:[1,0,0] neg_hi:[1,0,0]
	v_pk_fma_f32 v[34:35], v[26:27], v[82:83], v[14:15]
	v_pk_fma_f32 v[26:27], v[26:27], v[82:83], v[14:15] neg_lo:[0,0,1] neg_hi:[0,0,1]
	v_fmac_f32_e32 v24, v18, v1
	v_fma_f32 v19, v23, v4, -v10
	v_mov_b32_e32 v29, v45
	v_mov_b32_e32 v31, v13
	;; [unrolled: 1-line block ×8, first 2 shown]
	v_add_f32_e32 v12, v19, v37
	v_add_f32_e32 v15, v22, v24
	v_mov_b32_e32 v34, v17
	v_mov_b32_e32 v35, v26
	;; [unrolled: 1-line block ×4, first 2 shown]
	v_pk_add_f32 v[16:17], v[18:19], v[36:37] neg_lo:[0,1] neg_hi:[0,1]
	v_pk_add_f32 v[18:19], v[22:23], v[24:25] neg_lo:[0,1] neg_hi:[0,1]
	v_pk_add_f32 v[24:25], v[28:29], v[26:27]
	v_pk_add_f32 v[26:27], v[30:31], v[32:33]
	v_pk_add_f32 v[30:31], v[34:35], v[38:39] neg_lo:[0,1] neg_hi:[0,1]
	v_mov_b32_e32 v14, v26
	v_mov_b32_e32 v13, v25
	v_pk_add_f32 v[22:23], v[24:25], v[26:27] neg_lo:[0,1] neg_hi:[0,1]
	v_mov_b32_e32 v26, v12
	v_mov_b32_e32 v25, v15
	v_pk_add_f32 v[32:33], v[30:31], v[18:19]
	v_mov_b32_e32 v28, v30
	v_mov_b32_e32 v29, v17
	;; [unrolled: 1-line block ×7, first 2 shown]
	v_pk_add_f32 v[38:39], v[14:15], v[12:13]
	v_pk_add_f32 v[40:41], v[26:27], v[24:25] neg_lo:[0,1] neg_hi:[0,1]
	v_mov_b32_e32 v25, v27
	v_pk_add_f32 v[28:29], v[28:29], v[34:35] neg_lo:[0,1] neg_hi:[0,1]
	v_pk_add_f32 v[34:35], v[36:37], v[30:31] neg_lo:[0,1] neg_hi:[0,1]
	v_pk_add_f32 v[24:25], v[24:25], v[38:39]
	v_pk_mul_f32 v[26:27], v[34:35], s[20:21]
	v_pk_add_f32 v[30:31], v[8:9], v[24:25]
	v_pk_mul_f32 v[8:9], v[40:41], s[6:7]
	v_pk_add_f32 v[32:33], v[32:33], v[16:17]
	s_mov_b32 s6, 0x3ee1c552
	v_pk_fma_f32 v[24:25], v[24:25], s[0:1], v[30:31] op_sel_hi:[1,0,1]
	v_pk_fma_f32 v[34:35], v[22:23], s[4:5], v[8:9]
	v_pk_fma_f32 v[36:37], v[28:29], s[18:19], v[26:27]
	v_pk_add_f32 v[38:39], v[34:35], v[24:25]
	v_pk_fma_f32 v[36:37], v[32:33], s[6:7], v[36:37] op_sel_hi:[1,0,1]
	v_mov_b32_e32 v88, v1
	v_pk_add_f32 v[34:35], v[38:39], v[36:37]
	v_pk_add_f32 v[36:37], v[38:39], v[36:37] neg_lo:[0,1] neg_hi:[0,1]
	v_mov_b32_e32 v41, v35
	v_mov_b32_e32 v40, v36
	s_and_saveexec_b64 s[0:1], vcc
	s_cbranch_execz .LBB0_7
; %bb.6:
	v_mul_u32_u24_e32 v0, 14, v200
	v_or_b32_e32 v0, v0, v65
	v_pk_mul_f32 v[22:23], v[22:23], s[4:5]
	v_pk_mul_f32 v[28:29], v[28:29], s[18:19]
	v_lshlrev_b32_e32 v0, 3, v0
	v_mov_b32_e32 v35, v37
	v_pk_mul_f32 v[32:33], v[32:33], s[6:7] op_sel_hi:[1,0]
	ds_write2_b64 v0, v[30:31], v[34:35] offset1:2
	v_mov_b32_e32 v30, v8
	v_mov_b32_e32 v31, v23
	v_pk_add_f32 v[12:13], v[14:15], v[12:13] neg_lo:[0,1] neg_hi:[0,1]
	s_mov_b32 s4, 0x3f3bfb3b
	v_pk_add_f32 v[16:17], v[18:19], v[16:17] neg_lo:[0,1] neg_hi:[0,1]
	s_mov_b32 s6, 0x3f5ff5aa
	v_mov_b32_e32 v18, v26
	v_mov_b32_e32 v19, v29
	;; [unrolled: 1-line block ×4, first 2 shown]
	v_pk_fma_f32 v[14:15], v[12:13], s[4:5], v[30:31] op_sel_hi:[1,0,1] neg_lo:[1,0,1] neg_hi:[1,0,1]
	v_pk_fma_f32 v[18:19], v[16:17], s[6:7], v[18:19] op_sel_hi:[1,0,1] neg_lo:[1,0,1] neg_hi:[1,0,1]
	;; [unrolled: 1-line block ×4, first 2 shown]
	v_pk_add_f32 v[14:15], v[14:15], v[24:25]
	v_pk_add_f32 v[18:19], v[32:33], v[18:19]
	;; [unrolled: 1-line block ×5, first 2 shown]
	v_pk_add_f32 v[14:15], v[14:15], v[18:19] neg_lo:[0,1] neg_hi:[0,1]
	v_pk_add_f32 v[12:13], v[8:9], v[16:17] neg_lo:[0,1] neg_hi:[0,1]
	v_pk_add_f32 v[8:9], v[8:9], v[16:17]
	v_mov_b32_e32 v18, v30
	v_mov_b32_e32 v19, v15
	;; [unrolled: 1-line block ×6, first 2 shown]
	ds_write2_b64 v0, v[18:19], v[16:17] offset0:4 offset1:6
	ds_write2_b64 v0, v[8:9], v[14:15] offset0:8 offset1:10
	ds_write_b64 v0, v[40:41] offset:96
.LBB0_7:
	s_or_b64 exec, exec, s[0:1]
	v_lshrrev_b16_e32 v16, 1, v64
	v_and_b32_e32 v0, 0x7f, v16
	v_mul_lo_u16_e32 v0, 0x93, v0
	v_lshrrev_b16_e32 v0, 10, v0
	v_lshrrev_b16_e32 v9, 1, v20
	v_mul_lo_u16_e32 v8, 14, v0
	v_mul_u32_u24_e32 v9, 0x4925, v9
	v_sub_u16_e32 v8, v64, v8
	v_lshrrev_b32_e32 v30, 17, v9
	v_and_b32_e32 v17, 0xff, v8
	v_mul_lo_u16_e32 v9, 14, v30
	v_lshlrev_b32_e32 v8, 4, v17
	v_sub_u16_e32 v31, v20, v9
	s_waitcnt lgkmcnt(0)
	s_barrier
	v_lshlrev_b16_e32 v10, 4, v31
	global_load_dwordx4 v[12:15], v8, s[14:15] offset:96
	v_lshl_add_u64 v[8:9], s[14:15], 0, v[10:11]
	global_load_dwordx4 v[8:11], v[8:9], off offset:96
	v_add_u32_e32 v22, 0xe00, v76
	v_add_u32_e32 v26, 0x1c80, v76
	ds_read2_b64 v[18:21], v76 offset1:231
	ds_read2_b64 v[22:25], v22 offset0:14 offset1:245
	ds_read2_b64 v[26:29], v26 offset0:12 offset1:243
	v_mul_u32_u24_e32 v0, 42, v0
	v_mad_legacy_u16 v30, v30, 42, v31
	v_lshlrev_b32_e32 v201, 3, v30
	v_add_lshl_u32 v202, v0, v17, 3
	s_mov_b32 s4, 0x3f5db3d7
	s_movk_i32 s5, 0x7d
	s_movk_i32 s0, 0x7e
	v_cmp_gt_u16_e64 s[0:1], s0, v64
	s_waitcnt lgkmcnt(0)
	s_barrier
	s_waitcnt vmcnt(1)
	v_pk_mul_f32 v[30:31], v[22:23], v[12:13] op_sel:[0,1]
	v_mov_b32_e32 v0, v15
	v_pk_fma_f32 v[38:39], v[22:23], v[12:13], v[30:31] op_sel:[0,0,1] op_sel_hi:[1,1,0] neg_lo:[0,0,1] neg_hi:[0,0,1]
	v_pk_fma_f32 v[22:23], v[22:23], v[12:13], v[30:31] op_sel:[0,0,1] op_sel_hi:[1,0,0]
	v_pk_mul_f32 v[30:31], v[26:27], v[0:1] op_sel_hi:[1,0]
	s_waitcnt vmcnt(0)
	v_pk_mul_f32 v[32:33], v[24:25], v[8:9] op_sel_hi:[1,0]
	v_pk_mul_f32 v[34:35], v[28:29], v[10:11] op_sel_hi:[1,0]
	v_mov_b32_e32 v36, v11
	v_mov_b32_e32 v39, v23
	v_pk_fma_f32 v[22:23], v[26:27], v[14:15], v[30:31] op_sel:[0,0,1] op_sel_hi:[1,1,0] neg_lo:[0,0,1] neg_hi:[0,0,1]
	v_pk_fma_f32 v[26:27], v[26:27], v[14:15], v[30:31] op_sel:[0,0,1] op_sel_hi:[1,0,0]
	v_pk_fma_f32 v[42:43], v[24:25], v[8:9], v[32:33] op_sel:[0,0,1] op_sel_hi:[1,1,0] neg_lo:[1,0,0] neg_hi:[1,0,0]
	v_pk_fma_f32 v[24:25], v[24:25], v[8:9], v[32:33] op_sel:[0,1,1] op_sel_hi:[1,1,0]
	;; [unrolled: 2-line block ×3, first 2 shown]
	v_mov_b32_e32 v23, v27
	v_pk_add_f32 v[26:27], v[18:19], v[38:39]
	v_mov_b32_e32 v29, v33
	v_mov_b32_e32 v30, v43
	;; [unrolled: 1-line block ×5, first 2 shown]
	v_pk_add_f32 v[36:37], v[26:27], v[22:23]
	v_pk_add_f32 v[26:27], v[38:39], v[22:23]
	v_pk_add_f32 v[22:23], v[38:39], v[22:23] neg_lo:[0,1] neg_hi:[0,1]
	v_mov_b32_e32 v25, v43
	v_pk_add_f32 v[34:35], v[30:31], v[32:33]
	v_pk_fma_f32 v[18:19], v[26:27], 0.5, v[18:19] op_sel_hi:[1,0,1] neg_lo:[1,0,0] neg_hi:[1,0,0]
	v_pk_mul_f32 v[22:23], v[22:23], s[4:5] op_sel_hi:[1,0]
	v_pk_add_f32 v[24:25], v[24:25], v[28:29] neg_lo:[0,1] neg_hi:[0,1]
	v_pk_add_f32 v[28:29], v[20:21], v[30:31]
	v_pk_fma_f32 v[20:21], v[34:35], 0.5, v[20:21] op_sel_hi:[1,0,1] neg_lo:[1,0,0] neg_hi:[1,0,0]
	v_pk_add_f32 v[44:45], v[18:19], v[22:23] op_sel:[0,1] op_sel_hi:[1,0] neg_lo:[0,1] neg_hi:[0,1]
	v_pk_add_f32 v[58:59], v[22:23], v[18:19] op_sel:[1,0] op_sel_hi:[0,1]
	v_pk_add_f32 v[46:47], v[28:29], v[32:33]
	v_pk_fma_f32 v[50:51], v[24:25], s[4:5], v[20:21] op_sel_hi:[1,0,1] neg_lo:[1,0,0] neg_hi:[1,0,0]
	v_pk_fma_f32 v[56:57], v[24:25], s[4:5], v[20:21] op_sel_hi:[1,0,1]
	v_mov_b32_e32 v22, v58
	v_mov_b32_e32 v23, v45
	v_cmp_lt_u16_e64 s[4:5], s5, v64
	v_mov_b32_e32 v18, v56
	v_mov_b32_e32 v19, v51
	;; [unrolled: 1-line block ×6, first 2 shown]
	ds_write2_b64 v202, v[36:37], v[22:23] offset1:14
	ds_write_b64 v202, v[24:25] offset:224
	ds_write2_b64 v201, v[46:47], v[18:19] offset1:14
	ds_write_b64 v201, v[20:21] offset:224
	s_waitcnt lgkmcnt(0)
	s_barrier
	s_waitcnt lgkmcnt(0)
                                        ; implicit-def: $vgpr0
	s_and_saveexec_b64 s[6:7], s[4:5]
	s_xor_b64 s[6:7], exec, s[6:7]
; %bb.8:
	v_mov_b32_e32 v0, v41
; %bb.9:
	s_or_saveexec_b64 s[6:7], s[6:7]
	v_lshlrev_b32_e32 v89, 1, v64
                                        ; implicit-def: $vgpr38
                                        ; implicit-def: $vgpr52
                                        ; implicit-def: $vgpr48
                                        ; implicit-def: $vgpr62
                                        ; implicit-def: $vgpr60
                                        ; implicit-def: $vgpr94
	s_xor_b64 exec, exec, s[6:7]
	s_cbranch_execz .LBB0_11
; %bb.10:
	v_add_u32_e32 v0, 0x400, v76
	ds_read2_b64 v[44:47], v0 offset0:124 offset1:250
	v_add_u32_e32 v0, 0xc00, v76
	ds_read2_b64 v[48:51], v0 offset0:120 offset1:246
	;; [unrolled: 2-line block ×3, first 2 shown]
	v_add_u32_e32 v0, 0x1c00, v76
	ds_read2_b64 v[36:39], v76 offset1:126
	ds_read2_b64 v[52:55], v0 offset0:112 offset1:238
	ds_read_b64 v[60:61], v76 offset:10080
	s_waitcnt lgkmcnt(4)
	v_mov_b32_e32 v56, v48
	v_mov_b32_e32 v57, v51
	;; [unrolled: 1-line block ×3, first 2 shown]
	s_waitcnt lgkmcnt(2)
	v_mov_b32_e32 v58, v38
	v_mov_b32_e32 v51, v49
	;; [unrolled: 1-line block ×5, first 2 shown]
	s_waitcnt lgkmcnt(1)
	v_mov_b32_e32 v48, v53
	v_mov_b32_e32 v62, v55
	s_waitcnt lgkmcnt(0)
	v_mov_b32_e32 v94, v61
.LBB0_11:
	s_or_b64 exec, exec, s[6:7]
	v_and_b32_e32 v16, 0x7f, v16
	v_mul_lo_u16_e32 v16, 49, v16
	v_lshrrev_b16_e32 v203, 10, v16
	v_mul_lo_u16_e32 v16, 42, v203
	v_sub_u16_e32 v16, v64, v16
	v_and_b32_e32 v204, 0xff, v16
	s_movk_i32 s6, 0x50
	v_mov_b64_e32 v[16:17], s[14:15]
	v_mad_u64_u32 v[96:97], s[6:7], v204, s6, v[16:17]
	global_load_dwordx4 v[16:19], v[96:97], off offset:320
	global_load_dwordx4 v[28:31], v[96:97], off offset:336
	;; [unrolled: 1-line block ×5, first 2 shown]
	s_mov_b32 s24, 0xbf68dda4
	s_mov_b32 s18, 0xbf4178ce
	;; [unrolled: 1-line block ×12, first 2 shown]
	s_barrier
	s_waitcnt vmcnt(4)
	v_pk_mul_f32 v[96:97], v[44:45], v[16:17] op_sel:[1,0]
	v_pk_mul_f32 v[98:99], v[58:59], v[18:19] op_sel:[1,0]
	s_waitcnt vmcnt(3)
	v_pk_mul_f32 v[100:101], v[46:47], v[28:29] op_sel:[1,0]
	v_pk_mul_f32 v[102:103], v[50:51], v[30:31] op_sel:[1,0]
	s_waitcnt vmcnt(2)
	v_pk_mul_f32 v[104:105], v[56:57], v[20:21] op_sel:[1,0]
	v_pk_mul_f32 v[106:107], v[0:1], v[22:23] op_sel_hi:[0,1]
	s_waitcnt vmcnt(1)
	v_pk_mul_f32 v[108:109], v[38:39], v[24:25] op_sel_hi:[0,1]
	v_pk_mul_f32 v[48:49], v[48:49], v[26:27] op_sel_hi:[0,1]
	s_waitcnt vmcnt(0)
	v_pk_mul_f32 v[110:111], v[62:63], v[32:33] op_sel_hi:[0,1]
	v_pk_mul_f32 v[94:95], v[94:95], v[34:35] op_sel_hi:[0,1]
	v_pk_fma_f32 v[38:39], v[58:59], v[16:17], v[96:97] op_sel:[0,0,1] op_sel_hi:[1,1,0] neg_lo:[0,0,1] neg_hi:[0,0,1]
	v_pk_fma_f32 v[112:113], v[58:59], v[16:17], v[96:97] op_sel:[0,0,1] op_sel_hi:[0,1,0]
	v_pk_fma_f32 v[58:59], v[44:45], v[18:19], v[98:99] op_sel:[0,0,1] op_sel_hi:[1,1,0] neg_lo:[0,0,1] neg_hi:[0,0,1]
	v_pk_fma_f32 v[44:45], v[44:45], v[18:19], v[98:99] op_sel:[0,0,1] op_sel_hi:[0,1,0]
	;; [unrolled: 2-line block ×10, first 2 shown]
	v_mov_b32_e32 v39, v113
	v_mov_b32_e32 v55, v61
	;; [unrolled: 1-line block ×5, first 2 shown]
	v_pk_add_f32 v[50:51], v[38:39], v[54:55] neg_lo:[0,1] neg_hi:[0,1]
	v_mov_b32_e32 v63, v47
	v_mov_b32_e32 v43, v49
	v_pk_add_f32 v[48:49], v[38:39], v[54:55]
	v_pk_add_f32 v[160:161], v[58:59], v[52:53] neg_lo:[0,1] neg_hi:[0,1]
	v_pk_mul_f32 v[44:45], v[50:51], s[24:25] op_sel:[1,0] op_sel_hi:[0,0]
	v_mov_b32_e32 v97, v101
	v_mov_b32_e32 v41, v105
	v_pk_add_f32 v[118:119], v[58:59], v[52:53]
	v_pk_add_f32 v[164:165], v[62:63], v[42:43] neg_lo:[0,1] neg_hi:[0,1]
	v_pk_mul_f32 v[46:47], v[160:161], s[18:19] op_sel:[1,0] op_sel_hi:[0,0]
	v_pk_fma_f32 v[112:113], v[48:49], s[20:21], v[44:45] op_sel_hi:[1,0,1]
	v_pk_fma_f32 v[114:115], v[48:49], s[20:21], v[44:45] op_sel_hi:[1,0,1] neg_lo:[0,0,1] neg_hi:[0,0,1]
	v_pk_add_f32 v[166:167], v[62:63], v[42:43]
	v_pk_add_f32 v[168:169], v[96:97], v[40:41] neg_lo:[0,1] neg_hi:[0,1]
	v_pk_mul_f32 v[60:61], v[164:165], s[30:31] op_sel:[1,0] op_sel_hi:[0,0]
	v_pk_fma_f32 v[108:109], v[118:119], s[6:7], v[46:47] op_sel_hi:[1,0,1]
	v_pk_fma_f32 v[110:111], v[118:119], s[6:7], v[46:47] op_sel_hi:[1,0,1] neg_lo:[0,0,1] neg_hi:[0,0,1]
	v_mov_b32_e32 v44, v112
	v_mov_b32_e32 v45, v115
	v_pk_add_f32 v[170:171], v[96:97], v[40:41]
	v_pk_mul_f32 v[94:95], v[168:169], s[34:35] op_sel:[1,0] op_sel_hi:[0,0]
	v_pk_fma_f32 v[104:105], v[166:167], s[22:23], v[60:61] op_sel_hi:[1,0,1]
	v_pk_fma_f32 v[106:107], v[166:167], s[22:23], v[60:61] op_sel_hi:[1,0,1] neg_lo:[0,0,1] neg_hi:[0,0,1]
	v_mov_b32_e32 v46, v108
	v_mov_b32_e32 v47, v111
	v_pk_add_f32 v[44:45], v[36:37], v[44:45]
	v_mov_b32_e32 v99, v103
	v_pk_mul_f32 v[116:117], v[50:51], s[28:29] op_sel:[1,0] op_sel_hi:[0,0]
	v_pk_fma_f32 v[100:101], v[170:171], s[26:27], v[94:95] op_sel_hi:[1,0,1]
	v_pk_fma_f32 v[102:103], v[170:171], s[26:27], v[94:95] op_sel_hi:[1,0,1] neg_lo:[0,0,1] neg_hi:[0,0,1]
	v_mov_b32_e32 v94, v104
	v_mov_b32_e32 v95, v107
	v_pk_add_f32 v[44:45], v[46:47], v[44:45]
	v_pk_fma_f32 v[60:61], v[48:49], s[26:27], v[116:117] op_sel_hi:[1,0,1]
	v_mov_b32_e32 v120, v100
	v_mov_b32_e32 v121, v103
	v_pk_add_f32 v[44:45], v[94:95], v[44:45]
	v_pk_fma_f32 v[116:117], v[48:49], s[26:27], v[116:117] op_sel_hi:[1,0,1] neg_lo:[0,0,1] neg_hi:[0,0,1]
	v_pk_mul_f32 v[94:95], v[160:161], s[30:31] op_sel:[1,0] op_sel_hi:[0,0]
	v_pk_add_f32 v[44:45], v[120:121], v[44:45]
	v_mov_b32_e32 v46, v60
	v_mov_b32_e32 v47, v117
	v_pk_fma_f32 v[120:121], v[118:119], s[22:23], v[94:95] op_sel_hi:[1,0,1]
	v_pk_fma_f32 v[122:123], v[118:119], s[22:23], v[94:95] op_sel_hi:[1,0,1] neg_lo:[0,0,1] neg_hi:[0,0,1]
	v_pk_add_f32 v[46:47], v[36:37], v[46:47]
	v_mov_b32_e32 v94, v120
	v_mov_b32_e32 v95, v123
	s_mov_b32 s30, 0x3f68dda4
	v_pk_add_f32 v[46:47], v[94:95], v[46:47]
	v_pk_mul_f32 v[94:95], v[164:165], s[30:31] op_sel:[1,0] op_sel_hi:[0,0]
	v_pk_fma_f32 v[124:125], v[166:167], s[20:21], v[94:95] op_sel_hi:[1,0,1]
	v_pk_fma_f32 v[126:127], v[166:167], s[20:21], v[94:95] op_sel_hi:[1,0,1] neg_lo:[0,0,1] neg_hi:[0,0,1]
	v_mov_b32_e32 v94, v124
	v_mov_b32_e32 v95, v127
	v_pk_add_f32 v[46:47], v[94:95], v[46:47]
	v_pk_mul_f32 v[94:95], v[168:169], s[38:39] op_sel:[1,0] op_sel_hi:[0,0]
	v_pk_fma_f32 v[128:129], v[170:171], s[36:37], v[94:95] op_sel_hi:[1,0,1]
	v_pk_fma_f32 v[130:131], v[170:171], s[36:37], v[94:95] op_sel_hi:[1,0,1] neg_lo:[0,0,1] neg_hi:[0,0,1]
	v_mov_b32_e32 v94, v128
	v_mov_b32_e32 v95, v131
	v_pk_add_f32 v[172:173], v[56:57], v[98:99] neg_lo:[0,1] neg_hi:[0,1]
	v_pk_add_f32 v[94:95], v[94:95], v[46:47]
	v_pk_add_f32 v[174:175], v[56:57], v[98:99]
	v_pk_mul_f32 v[46:47], v[172:173], s[40:41] op_sel:[1,0] op_sel_hi:[0,0]
	v_pk_fma_f32 v[148:149], v[174:175], s[36:37], v[46:47] op_sel_hi:[1,0,1]
	v_pk_fma_f32 v[150:151], v[174:175], s[36:37], v[46:47] op_sel_hi:[1,0,1] neg_lo:[0,0,1] neg_hi:[0,0,1]
	v_mov_b32_e32 v46, v148
	v_mov_b32_e32 v47, v151
	v_pk_add_f32 v[46:47], v[46:47], v[44:45]
	v_pk_mul_f32 v[44:45], v[172:173], s[18:19] op_sel:[1,0] op_sel_hi:[0,0]
	v_pk_fma_f32 v[132:133], v[174:175], s[6:7], v[44:45] op_sel_hi:[1,0,1]
	v_pk_fma_f32 v[134:135], v[174:175], s[6:7], v[44:45] op_sel_hi:[1,0,1] neg_lo:[0,0,1] neg_hi:[0,0,1]
	v_mov_b32_e32 v44, v132
	v_mov_b32_e32 v45, v135
	v_pk_add_f32 v[44:45], v[44:45], v[94:95]
	v_pk_mul_f32 v[94:95], v[50:51], s[18:19] op_sel:[1,0] op_sel_hi:[0,0]
	v_pk_fma_f32 v[136:137], v[48:49], s[6:7], v[94:95] op_sel_hi:[1,0,1]
	v_pk_fma_f32 v[138:139], v[48:49], s[6:7], v[94:95] op_sel_hi:[1,0,1] neg_lo:[0,0,1] neg_hi:[0,0,1]
	v_pk_mul_f32 v[142:143], v[160:161], s[34:35] op_sel:[1,0] op_sel_hi:[0,0]
	v_mov_b32_e32 v94, v136
	v_mov_b32_e32 v95, v139
	v_pk_fma_f32 v[140:141], v[118:119], s[26:27], v[142:143] op_sel_hi:[1,0,1]
	v_pk_fma_f32 v[142:143], v[118:119], s[26:27], v[142:143] op_sel_hi:[1,0,1] neg_lo:[0,0,1] neg_hi:[0,0,1]
	v_pk_add_f32 v[94:95], v[36:37], v[94:95]
	v_mov_b32_e32 v144, v140
	v_mov_b32_e32 v145, v143
	v_pk_mul_f32 v[146:147], v[164:165], s[38:39] op_sel:[1,0] op_sel_hi:[0,0]
	v_pk_add_f32 v[94:95], v[144:145], v[94:95]
	v_pk_fma_f32 v[144:145], v[166:167], s[36:37], v[146:147] op_sel_hi:[1,0,1]
	v_pk_fma_f32 v[146:147], v[166:167], s[36:37], v[146:147] op_sel_hi:[1,0,1] neg_lo:[0,0,1] neg_hi:[0,0,1]
	s_mov_b32 s34, 0xbe903f40
	v_mov_b32_e32 v152, v144
	v_mov_b32_e32 v153, v147
	v_pk_mul_f32 v[154:155], v[168:169], s[34:35] op_sel:[1,0] op_sel_hi:[0,0]
	v_pk_add_f32 v[94:95], v[152:153], v[94:95]
	v_pk_fma_f32 v[152:153], v[170:171], s[22:23], v[154:155] op_sel_hi:[1,0,1]
	v_pk_fma_f32 v[154:155], v[170:171], s[22:23], v[154:155] op_sel_hi:[1,0,1] neg_lo:[0,0,1] neg_hi:[0,0,1]
	v_mov_b32_e32 v156, v152
	v_mov_b32_e32 v157, v155
	v_pk_add_f32 v[206:207], v[156:157], v[94:95]
	v_pk_mul_f32 v[94:95], v[50:51], s[38:39] op_sel:[1,0] op_sel_hi:[0,0]
	v_pk_fma_f32 v[176:177], v[48:49], s[36:37], v[94:95] op_sel_hi:[1,0,1]
	v_pk_fma_f32 v[178:179], v[48:49], s[36:37], v[94:95] op_sel_hi:[1,0,1] neg_lo:[0,0,1] neg_hi:[0,0,1]
	v_pk_mul_f32 v[156:157], v[160:161], s[24:25] op_sel:[1,0] op_sel_hi:[0,0]
	v_mov_b32_e32 v94, v176
	v_mov_b32_e32 v95, v179
	v_pk_fma_f32 v[180:181], v[118:119], s[20:21], v[156:157] op_sel_hi:[1,0,1]
	v_pk_fma_f32 v[182:183], v[118:119], s[20:21], v[156:157] op_sel_hi:[1,0,1] neg_lo:[0,0,1] neg_hi:[0,0,1]
	v_pk_add_f32 v[94:95], v[36:37], v[94:95]
	v_mov_b32_e32 v156, v180
	v_mov_b32_e32 v157, v183
	v_pk_add_f32 v[94:95], v[156:157], v[94:95]
	v_pk_mul_f32 v[156:157], v[164:165], s[28:29] op_sel:[1,0] op_sel_hi:[0,0]
	v_pk_fma_f32 v[188:189], v[166:167], s[26:27], v[156:157] op_sel_hi:[1,0,1]
	v_pk_fma_f32 v[190:191], v[166:167], s[26:27], v[156:157] op_sel_hi:[1,0,1] neg_lo:[0,0,1] neg_hi:[0,0,1]
	v_mov_b32_e32 v156, v188
	v_mov_b32_e32 v157, v191
	v_pk_add_f32 v[94:95], v[156:157], v[94:95]
	v_pk_mul_f32 v[156:157], v[168:169], s[18:19] op_sel:[1,0] op_sel_hi:[0,0]
	v_pk_fma_f32 v[192:193], v[170:171], s[6:7], v[156:157] op_sel_hi:[1,0,1]
	v_pk_fma_f32 v[194:195], v[170:171], s[6:7], v[156:157] op_sel_hi:[1,0,1] neg_lo:[0,0,1] neg_hi:[0,0,1]
	;; [unrolled: 6-line block ×3, first 2 shown]
	v_mov_b32_e32 v156, v196
	v_mov_b32_e32 v157, v199
	v_pk_mul_f32 v[50:51], v[50:51], s[34:35] op_sel:[1,0] op_sel_hi:[0,0]
	v_pk_add_f32 v[94:95], v[156:157], v[94:95]
	v_pk_fma_f32 v[156:157], v[48:49], s[22:23], v[50:51] op_sel_hi:[1,0,1]
	v_pk_fma_f32 v[158:159], v[48:49], s[22:23], v[50:51] op_sel_hi:[1,0,1] neg_lo:[0,0,1] neg_hi:[0,0,1]
	v_pk_mul_f32 v[48:49], v[160:161], s[40:41] op_sel:[1,0] op_sel_hi:[0,0]
	v_pk_fma_f32 v[160:161], v[118:119], s[36:37], v[48:49] op_sel_hi:[1,0,1]
	v_pk_fma_f32 v[162:163], v[118:119], s[36:37], v[48:49] op_sel_hi:[1,0,1] neg_lo:[0,0,1] neg_hi:[0,0,1]
	v_mov_b32_e32 v48, v156
	v_mov_b32_e32 v49, v159
	v_pk_add_f32 v[48:49], v[36:37], v[48:49]
	v_mov_b32_e32 v50, v160
	v_mov_b32_e32 v51, v163
	v_pk_add_f32 v[48:49], v[50:51], v[48:49]
	v_pk_mul_f32 v[50:51], v[164:165], s[18:19] op_sel:[1,0] op_sel_hi:[0,0]
	v_pk_fma_f32 v[164:165], v[166:167], s[6:7], v[50:51] op_sel_hi:[1,0,1]
	v_pk_fma_f32 v[166:167], v[166:167], s[6:7], v[50:51] op_sel_hi:[1,0,1] neg_lo:[0,0,1] neg_hi:[0,0,1]
	v_mov_b32_e32 v50, v164
	v_mov_b32_e32 v51, v167
	v_pk_add_f32 v[48:49], v[50:51], v[48:49]
	v_pk_mul_f32 v[50:51], v[168:169], s[30:31] op_sel:[1,0] op_sel_hi:[0,0]
	v_pk_fma_f32 v[168:169], v[170:171], s[20:21], v[50:51] op_sel_hi:[1,0,1]
	v_pk_fma_f32 v[170:171], v[170:171], s[20:21], v[50:51] op_sel_hi:[1,0,1] neg_lo:[0,0,1] neg_hi:[0,0,1]
	;; [unrolled: 6-line block ×3, first 2 shown]
	v_pk_mul_f32 v[50:51], v[172:173], s[28:29] op_sel:[1,0] op_sel_hi:[0,0]
	v_pk_fma_f32 v[172:173], v[174:175], s[26:27], v[50:51] op_sel_hi:[1,0,1]
	v_pk_fma_f32 v[174:175], v[174:175], s[26:27], v[50:51] op_sel_hi:[1,0,1] neg_lo:[0,0,1] neg_hi:[0,0,1]
	v_mov_b32_e32 v50, v172
	v_mov_b32_e32 v51, v175
	v_pk_add_f32 v[48:49], v[50:51], v[48:49]
	v_mov_b32_e32 v50, v184
	v_mov_b32_e32 v51, v187
	v_pk_add_f32 v[50:51], v[50:51], v[206:207]
	v_add_u32_e32 v0, 0x1ce0, v67
	v_mov_b32_e32 v119, 0
	s_and_saveexec_b64 s[6:7], s[0:1]
	s_cbranch_execz .LBB0_13
; %bb.12:
	v_pk_add_f32 v[38:39], v[36:37], v[38:39]
	v_mov_b32_e32 v179, v177
	v_pk_add_f32 v[38:39], v[38:39], v[58:59]
	v_mov_b32_e32 v183, v181
	;; [unrolled: 2-line block ×4, first 2 shown]
	v_pk_add_f32 v[38:39], v[38:39], v[56:57]
	v_mul_u32_u24_e32 v60, 0x1ce, v203
	v_pk_add_f32 v[38:39], v[38:39], v[98:99]
	v_mov_b32_e32 v199, v197
	v_pk_add_f32 v[38:39], v[38:39], v[40:41]
	v_pk_add_f32 v[40:41], v[36:37], v[178:179]
	;; [unrolled: 1-line block ×6, first 2 shown]
	v_add_lshl_u32 v60, v60, v204, 3
	v_pk_add_f32 v[40:41], v[194:195], v[40:41]
	v_pk_add_f32 v[38:39], v[38:39], v[54:55]
	;; [unrolled: 1-line block ×3, first 2 shown]
	v_mov_b32_e32 v115, v113
	v_mov_b32_e32 v117, v61
	ds_write2_b64 v60, v[38:39], v[40:41] offset1:42
	v_pk_add_f32 v[38:39], v[36:37], v[114:115]
	v_mov_b32_e32 v111, v109
	v_pk_add_f32 v[40:41], v[36:37], v[116:117]
	v_mov_b32_e32 v123, v121
	;; [unrolled: 2-line block ×8, first 2 shown]
	v_pk_add_f32 v[38:39], v[150:151], v[38:39]
	v_pk_add_f32 v[40:41], v[134:135], v[40:41]
	v_mov_b32_e32 v139, v137
	v_mov_b32_e32 v159, v157
	ds_write2_b64 v60, v[38:39], v[40:41] offset0:84 offset1:126
	v_pk_add_f32 v[38:39], v[36:37], v[138:139]
	v_mov_b32_e32 v143, v141
	v_pk_add_f32 v[36:37], v[36:37], v[158:159]
	v_mov_b32_e32 v163, v161
	;; [unrolled: 2-line block ×8, first 2 shown]
	v_pk_add_f32 v[38:39], v[186:187], v[38:39]
	v_pk_add_f32 v[36:37], v[174:175], v[36:37]
	ds_write2_b64 v60, v[38:39], v[36:37] offset0:168 offset1:210
	v_add_u32_e32 v36, 0x400, v60
	ds_write2_b64 v36, v[48:49], v[50:51] offset0:124 offset1:166
	v_add_u32_e32 v36, 0x800, v60
	ds_write2_b64 v36, v[44:45], v[46:47] offset0:80 offset1:122
	ds_write_b64 v60, v[94:95] offset:3360
.LBB0_13:
	s_or_b64 exec, exec, s[6:7]
	v_lshlrev_b32_e32 v52, 3, v89
	s_waitcnt lgkmcnt(0)
	s_barrier
	global_load_dwordx4 v[40:43], v52, s[14:15] offset:3680
	global_load_dwordx4 v[36:39], v77, s[14:15] offset:3680
	v_add_u32_e32 v89, 0xe00, v76
	ds_read2_b64 v[52:55], v76 offset1:231
	v_add_u32_e32 v107, 0x1c80, v76
	ds_read2_b64 v[56:59], v89 offset0:14 offset1:245
	ds_read2_b64 v[60:63], v107 offset0:12 offset1:243
	v_lshlrev_b32_e32 v118, 3, v64
	s_mov_b32 s14, 0x3f5db3d7
	s_movk_i32 s6, 0x2000
	v_lshl_add_u64 v[96:97], s[12:13], 0, v[118:119]
	v_add_co_u32_e64 v98, s[6:7], s6, v96
	s_mov_b64 s[18:19], 0x2b50
	s_nop 0
	v_addc_co_u32_e64 v99, s[6:7], 0, v97, s[6:7]
	s_movk_i32 s6, 0x4000
	s_waitcnt vmcnt(1) lgkmcnt(1)
	v_pk_mul_f32 v[100:101], v[56:57], v[40:41] op_sel:[0,1]
	v_mov_b32_e32 v102, v43
	s_waitcnt vmcnt(0)
	v_pk_mul_f32 v[104:105], v[58:59], v[36:37] op_sel:[0,1]
	v_mov_b32_e32 v106, v39
	v_pk_fma_f32 v[108:109], v[56:57], v[40:41], v[100:101] op_sel:[0,0,1] op_sel_hi:[1,1,0] neg_lo:[0,0,1] neg_hi:[0,0,1]
	v_pk_fma_f32 v[56:57], v[56:57], v[40:41], v[100:101] op_sel:[0,0,1] op_sel_hi:[1,0,0]
	s_waitcnt lgkmcnt(0)
	v_pk_mul_f32 v[100:101], v[60:61], v[102:103] op_sel_hi:[1,0]
	v_pk_fma_f32 v[102:103], v[58:59], v[36:37], v[104:105] op_sel:[0,0,1] op_sel_hi:[1,1,0] neg_lo:[0,0,1] neg_hi:[0,0,1]
	v_pk_fma_f32 v[58:59], v[58:59], v[36:37], v[104:105] op_sel:[0,0,1] op_sel_hi:[1,0,0]
	v_pk_mul_f32 v[104:105], v[62:63], v[106:107] op_sel_hi:[1,0]
	v_mov_b32_e32 v109, v57
	v_pk_fma_f32 v[56:57], v[60:61], v[42:43], v[100:101] op_sel:[0,0,1] op_sel_hi:[1,1,0] neg_lo:[0,0,1] neg_hi:[0,0,1]
	v_pk_fma_f32 v[60:61], v[60:61], v[42:43], v[100:101] op_sel:[0,0,1] op_sel_hi:[1,0,0]
	v_mov_b32_e32 v103, v59
	v_pk_fma_f32 v[58:59], v[62:63], v[38:39], v[104:105] op_sel:[0,0,1] op_sel_hi:[1,1,0] neg_lo:[0,0,1] neg_hi:[0,0,1]
	v_pk_fma_f32 v[62:63], v[62:63], v[38:39], v[104:105] op_sel:[0,0,1] op_sel_hi:[1,0,0]
	v_mov_b32_e32 v57, v61
	v_pk_add_f32 v[60:61], v[52:53], v[108:109]
	v_mov_b32_e32 v59, v63
	v_pk_add_f32 v[62:63], v[54:55], v[102:103]
	v_pk_add_f32 v[60:61], v[60:61], v[56:57]
	;; [unrolled: 1-line block ×3, first 2 shown]
	v_pk_add_f32 v[56:57], v[108:109], v[56:57] neg_lo:[0,1] neg_hi:[0,1]
	v_pk_add_f32 v[62:63], v[62:63], v[58:59]
	v_pk_add_f32 v[104:105], v[102:103], v[58:59]
	v_pk_add_f32 v[58:59], v[102:103], v[58:59] neg_lo:[0,1] neg_hi:[0,1]
	v_pk_fma_f32 v[52:53], v[100:101], 0.5, v[52:53] op_sel_hi:[1,0,1] neg_lo:[1,0,0] neg_hi:[1,0,0]
	v_pk_mul_f32 v[56:57], v[56:57], s[14:15] op_sel_hi:[1,0]
	v_pk_fma_f32 v[54:55], v[104:105], 0.5, v[54:55] op_sel_hi:[1,0,1] neg_lo:[1,0,0] neg_hi:[1,0,0]
	v_pk_mul_f32 v[58:59], v[58:59], s[14:15] op_sel_hi:[1,0]
	v_pk_add_f32 v[100:101], v[52:53], v[56:57] op_sel:[0,1] op_sel_hi:[1,0]
	v_pk_add_f32 v[52:53], v[52:53], v[56:57] op_sel:[0,1] op_sel_hi:[1,0] neg_lo:[0,1] neg_hi:[0,1]
	v_pk_add_f32 v[56:57], v[54:55], v[58:59] op_sel:[0,1] op_sel_hi:[1,0]
	v_pk_add_f32 v[54:55], v[54:55], v[58:59] op_sel:[0,1] op_sel_hi:[1,0] neg_lo:[0,1] neg_hi:[0,1]
	v_mov_b32_e32 v58, v100
	v_mov_b32_e32 v59, v53
	;; [unrolled: 1-line block ×6, first 2 shown]
	ds_write_b64 v76, v[58:59] offset:3696
	ds_write_b64 v76, v[52:53] offset:7392
	ds_write2_b64 v76, v[60:61], v[62:63] offset1:231
	ds_write_b64 v76, v[100:101] offset:5544
	ds_write_b64 v76, v[54:55] offset:9240
	s_waitcnt lgkmcnt(0)
	s_barrier
	global_load_dwordx2 v[56:57], v[98:99], off offset:2896
	v_lshl_add_u64 v[52:53], v[96:97], 0, s[18:19]
	global_load_dwordx2 v[98:99], v[52:53], off offset:1848
	v_add_co_u32_e64 v54, s[6:7], s6, v96
	v_add_u32_e32 v106, 0x1500, v76
	s_nop 0
	v_addc_co_u32_e64 v55, s[6:7], 0, v97, s[6:7]
	global_load_dwordx2 v[96:97], v[54:55], off offset:248
	global_load_dwordx2 v[100:101], v[54:55], off offset:2096
	;; [unrolled: 1-line block ×4, first 2 shown]
	ds_read2_b64 v[52:55], v76 offset1:231
	v_add_u32_e32 v108, 0x700, v76
	s_waitcnt vmcnt(5) lgkmcnt(0)
	v_mul_f32_e32 v58, v53, v57
	v_mul_f32_e32 v59, v52, v57
	v_fma_f32 v58, v52, v56, -v58
	v_fmac_f32_e32 v59, v53, v56
	ds_write_b64 v76, v[58:59]
	ds_read2_b64 v[56:59], v89 offset0:14 offset1:245
	ds_read2_b64 v[60:63], v107 offset0:12 offset1:243
	s_waitcnt vmcnt(4)
	v_mul_f32_e32 v109, v55, v99
	v_mul_f32_e32 v53, v54, v99
	v_fma_f32 v52, v54, v98, -v109
	v_fmac_f32_e32 v53, v55, v98
	s_waitcnt vmcnt(3) lgkmcnt(1)
	v_mul_f32_e32 v54, v59, v97
	v_mul_f32_e32 v55, v58, v97
	s_waitcnt vmcnt(2) lgkmcnt(0)
	v_mul_f32_e32 v98, v61, v101
	v_mul_f32_e32 v97, v60, v101
	s_waitcnt vmcnt(1)
	v_mul_f32_e32 v109, v57, v103
	v_mul_f32_e32 v99, v56, v103
	s_waitcnt vmcnt(0)
	v_mul_f32_e32 v103, v63, v105
	v_mul_f32_e32 v101, v62, v105
	v_fma_f32 v54, v58, v96, -v54
	v_fmac_f32_e32 v55, v59, v96
	v_fma_f32 v96, v60, v100, -v98
	v_fmac_f32_e32 v97, v61, v100
	;; [unrolled: 2-line block ×4, first 2 shown]
	ds_write2_b64 v106, v[54:55], v[96:97] offset0:21 offset1:252
	ds_write2_b64 v108, v[52:53], v[98:99] offset0:7 offset1:238
	ds_write_b64 v76, v[100:101] offset:9240
	s_waitcnt lgkmcnt(0)
	s_barrier
	ds_read2_b64 v[52:55], v89 offset0:14 offset1:245
	ds_read2_b64 v[56:59], v107 offset0:12 offset1:243
	ds_read2_b64 v[102:105], v76 offset1:231
	s_waitcnt lgkmcnt(0)
	s_barrier
	v_mov_b32_e32 v61, v55
	v_mov_b32_e32 v60, v56
	;; [unrolled: 1-line block ×8, first 2 shown]
	v_pk_add_f32 v[58:59], v[52:53], v[58:59] neg_lo:[0,1] neg_hi:[0,1]
	v_pk_add_f32 v[100:101], v[54:55], v[60:61] neg_lo:[0,1] neg_hi:[0,1]
	;; [unrolled: 1-line block ×3, first 2 shown]
	v_pk_fma_f32 v[56:57], v[52:53], 2.0, v[58:59] op_sel_hi:[1,0,1] neg_lo:[0,0,1] neg_hi:[0,0,1]
	v_mov_b32_e32 v52, v99
	v_mov_b32_e32 v53, v101
	;; [unrolled: 1-line block ×8, first 2 shown]
	v_pk_fma_f32 v[52:53], v[102:103], 2.0, v[52:53] op_sel_hi:[1,0,1] neg_lo:[0,0,1] neg_hi:[0,0,1]
	v_pk_fma_f32 v[60:61], v[104:105], 2.0, v[60:61] op_sel_hi:[1,0,1] neg_lo:[0,0,1] neg_hi:[0,0,1]
	ds_write_b128 v67, v[52:55]
	ds_write_b128 v77, v[60:63]
	ds_write_b128 v0, v[56:59]
	s_waitcnt lgkmcnt(0)
	s_barrier
	s_waitcnt lgkmcnt(0)
                                        ; implicit-def: $vgpr62_vgpr63
                                        ; implicit-def: $vgpr104_vgpr105
                                        ; implicit-def: $vgpr102_vgpr103
                                        ; implicit-def: $vgpr96_vgpr97
	s_and_saveexec_b64 s[6:7], s[2:3]
	s_xor_b64 s[2:3], exec, s[6:7]
; %bb.14:
	v_mov_b32_e32 v96, v56
	v_mov_b32_e32 v97, v49
	;; [unrolled: 1-line block ×4, first 2 shown]
	v_mov_b64_e32 v[62:63], v[98:99]
	v_mov_b64_e32 v[104:105], v[100:101]
; %bb.15:
	s_andn2_saveexec_b64 s[2:3], s[2:3]
	s_cbranch_execz .LBB0_17
; %bb.16:
	v_add_u32_e32 v0, 0x1800, v76
	ds_read2_b64 v[56:59], v0 offset0:24 offset1:222
	ds_read_b64 v[48:49], v76 offset:9504
	ds_read2_b64 v[52:55], v76 offset1:198
	v_add_u32_e32 v0, 0xc00, v76
	ds_read2_b64 v[60:63], v0 offset0:12 offset1:210
	s_waitcnt lgkmcnt(3)
	v_mov_b32_e32 v96, v56
	s_waitcnt lgkmcnt(2)
	v_mov_b32_e32 v97, v49
	v_mov_b32_e32 v102, v57
	;; [unrolled: 1-line block ×3, first 2 shown]
	s_waitcnt lgkmcnt(0)
	v_mov_b32_e32 v104, v62
	v_mov_b32_e32 v105, v55
	;; [unrolled: 1-line block ×6, first 2 shown]
.LBB0_17:
	s_or_b64 exec, exec, s[2:3]
	v_mul_f32_e32 v5, v5, v101
	v_pk_mul_f32 v[56:57], v[90:91], v[62:63]
	v_mov_b32_e32 v90, v60
	v_mov_b32_e32 v91, v104
	v_mul_f32_e32 v0, v84, v60
	v_mov_b32_e32 v89, v86
	v_mov_b32_e32 v100, v59
	;; [unrolled: 1-line block ×3, first 2 shown]
	v_fmac_f32_e32 v5, v4, v99
	v_mov_b32_e32 v54, v85
	v_mov_b32_e32 v55, v4
	v_pk_mul_f32 v[90:91], v[6:7], v[90:91]
	v_mov_b32_e32 v7, v62
	v_mov_b32_e32 v98, v61
	;; [unrolled: 1-line block ×3, first 2 shown]
	v_fma_f32 v6, v6, v61, -v0
	v_pk_mul_f32 v[60:61], v[92:93], v[102:103]
	v_mov_b32_e32 v62, v87
	v_mov_b32_e32 v63, v82
	;; [unrolled: 1-line block ×5, first 2 shown]
	v_pk_mul_f32 v[88:89], v[88:89], v[100:101]
	v_mul_f32_e32 v0, v87, v59
	v_mul_f32_e32 v49, v3, v49
	v_pk_fma_f32 v[86:87], v[54:55], v[104:105], v[56:57] neg_lo:[0,0,1] neg_hi:[0,0,1]
	v_pk_fma_f32 v[100:101], v[54:55], v[104:105], v[56:57]
	v_pk_fma_f32 v[102:103], v[84:85], v[6:7], v[90:91] neg_lo:[0,0,1] neg_hi:[0,0,1]
	v_pk_fma_f32 v[56:57], v[84:85], v[98:99], v[90:91]
	;; [unrolled: 2-line block ×3, first 2 shown]
	v_pk_fma_f32 v[54:55], v[82:83], v[96:97], v[60:61] neg_lo:[0,0,1] neg_hi:[0,0,1]
	v_fma_f32 v58, -v1, v58, v0
	v_fmac_f32_e32 v49, v2, v48
	v_pk_fma_f32 v[60:61], v[82:83], v[96:97], v[60:61]
	v_mov_b32_e32 v4, v87
	v_mov_b32_e32 v48, v55
	;; [unrolled: 1-line block ×4, first 2 shown]
	v_add_f32_e32 v0, v49, v5
	v_add_f32_e32 v3, v58, v6
	v_pk_add_f32 v[4:5], v[4:5], v[48:49] neg_lo:[0,1] neg_hi:[0,1]
	v_pk_add_f32 v[6:7], v[6:7], v[58:59] neg_lo:[0,1] neg_hi:[0,1]
	v_mov_b32_e32 v48, v85
	v_mov_b32_e32 v49, v60
	;; [unrolled: 1-line block ×8, first 2 shown]
	v_pk_add_f32 v[48:49], v[48:49], v[58:59] neg_lo:[0,1] neg_hi:[0,1]
	v_pk_add_f32 v[54:55], v[60:61], v[100:101]
	v_pk_add_f32 v[56:57], v[62:63], v[56:57]
	v_mov_b32_e32 v82, v48
	v_mov_b32_e32 v83, v5
	;; [unrolled: 1-line block ×4, first 2 shown]
	s_mov_b32 s6, 0x3d64c772
	v_add_f32_e32 v60, v56, v0
	v_add_f32_e32 v63, v3, v55
	v_mov_b32_e32 v1, v57
	v_mov_b32_e32 v2, v54
	v_pk_add_f32 v[84:85], v[48:49], v[6:7]
	v_pk_add_f32 v[82:83], v[82:83], v[86:87] neg_lo:[0,1] neg_hi:[0,1]
	v_mov_b32_e32 v86, v4
	v_mov_b32_e32 v49, v7
	;; [unrolled: 1-line block ×4, first 2 shown]
	s_mov_b32 s7, 0x3f4a47b2
	s_mov_b32 s18, 0xbeae86e6
	v_pk_add_f32 v[88:89], v[0:1], v[2:3] neg_lo:[0,1] neg_hi:[0,1]
	v_pk_add_f32 v[48:49], v[86:87], v[48:49] neg_lo:[0,1] neg_hi:[0,1]
	v_pk_add_f32 v[60:61], v[62:63], v[60:61]
	s_mov_b32 s12, s7
	s_mov_b32 s13, s6
	s_mov_b32 s19, 0x3f08b237
	v_pk_add_f32 v[58:59], v[54:55], v[56:57] neg_lo:[0,1] neg_hi:[0,1]
	v_pk_add_f32 v[86:87], v[84:85], v[4:5]
	v_pk_add_f32 v[84:85], v[52:53], v[60:61]
	s_mov_b32 s2, 0xbf955555
	v_pk_mul_f32 v[52:53], v[88:89], s[12:13]
	v_pk_mul_f32 v[62:63], v[48:49], s[18:19]
	s_mov_b32 s14, s19
	s_mov_b32 s15, s18
	;; [unrolled: 1-line block ×3, first 2 shown]
	v_pk_fma_f32 v[60:61], v[60:61], s[2:3], v[84:85] op_sel_hi:[1,0,1]
	v_pk_fma_f32 v[48:49], v[58:59], s[6:7], v[52:53]
	v_pk_fma_f32 v[88:89], v[82:83], s[14:15], v[62:63]
	v_pk_add_f32 v[48:49], v[48:49], v[60:61]
	v_pk_fma_f32 v[90:91], v[86:87], s[12:13], v[88:89] op_sel_hi:[1,0,1]
	s_nop 0
	v_pk_add_f32 v[88:89], v[48:49], v[90:91]
	v_pk_add_f32 v[90:91], v[48:49], v[90:91] neg_lo:[0,1] neg_hi:[0,1]
	v_mov_b32_e32 v49, v89
	v_mov_b32_e32 v48, v90
	s_barrier
	s_and_saveexec_b64 s[2:3], vcc
	s_cbranch_execz .LBB0_19
; %bb.18:
	v_mul_u32_u24_e32 v1, 14, v200
	v_or_b32_e32 v1, v1, v65
	v_pk_mul_f32 v[58:59], v[58:59], s[6:7]
	v_pk_mul_f32 v[82:83], v[82:83], s[14:15]
	v_lshlrev_b32_e32 v65, 3, v1
	v_mov_b32_e32 v89, v91
	v_mov_b32_e32 v57, v3
	;; [unrolled: 1-line block ×3, first 2 shown]
	v_pk_mul_f32 v[86:87], v[86:87], s[12:13] op_sel_hi:[1,0]
	ds_write2_b64 v65, v[84:85], v[88:89] offset1:2
	v_mov_b32_e32 v84, v52
	v_mov_b32_e32 v85, v59
	v_pk_add_f32 v[0:1], v[56:57], v[0:1] neg_lo:[0,1] neg_hi:[0,1]
	s_mov_b32 s6, 0x3f3bfb3b
	v_pk_add_f32 v[4:5], v[6:7], v[4:5] neg_lo:[0,1] neg_hi:[0,1]
	s_mov_b32 s12, 0xbf5ff5aa
	v_mov_b32_e32 v6, v62
	v_mov_b32_e32 v7, v83
	;; [unrolled: 1-line block ×4, first 2 shown]
	v_pk_fma_f32 v[2:3], v[0:1], s[6:7], v[84:85] op_sel_hi:[1,0,1] neg_lo:[1,0,1] neg_hi:[1,0,1]
	v_pk_fma_f32 v[6:7], v[4:5], s[12:13], v[6:7] op_sel_hi:[1,0,1] neg_lo:[1,0,1] neg_hi:[1,0,1]
	;; [unrolled: 1-line block ×4, first 2 shown]
	v_pk_add_f32 v[2:3], v[2:3], v[60:61]
	v_pk_add_f32 v[6:7], v[86:87], v[6:7]
	;; [unrolled: 1-line block ×5, first 2 shown]
	v_pk_add_f32 v[2:3], v[2:3], v[6:7] neg_lo:[0,1] neg_hi:[0,1]
	v_pk_add_f32 v[52:53], v[0:1], v[4:5] neg_lo:[0,1] neg_hi:[0,1]
	v_pk_add_f32 v[0:1], v[0:1], v[4:5]
	v_mov_b32_e32 v6, v54
	v_mov_b32_e32 v7, v3
	;; [unrolled: 1-line block ×6, first 2 shown]
	ds_write2_b64 v65, v[6:7], v[4:5] offset0:4 offset1:6
	ds_write2_b64 v65, v[0:1], v[2:3] offset0:8 offset1:10
	ds_write_b64 v65, v[48:49] offset:96
.LBB0_19:
	s_or_b64 exec, exec, s[2:3]
	v_add_u32_e32 v0, 0xe00, v76
	s_waitcnt lgkmcnt(0)
	s_barrier
	ds_read2_b64 v[2:5], v0 offset0:14 offset1:245
	v_add_u32_e32 v0, 0x1c80, v76
	ds_read2_b64 v[54:57], v0 offset0:12 offset1:243
	ds_read2_b64 v[58:61], v76 offset1:231
	s_mov_b32 s2, 0x3f5db3d7
	s_waitcnt lgkmcnt(0)
	v_pk_mul_f32 v[6:7], v[12:13], v[2:3] op_sel_hi:[1,0]
	v_mov_b32_e32 v0, v3
	v_pk_fma_f32 v[2:3], v[12:13], v[2:3], v[6:7] op_sel:[0,1,1] op_sel_hi:[1,1,0]
	v_pk_fma_f32 v[0:1], v[12:13], v[0:1], v[6:7] op_sel:[0,0,1] op_sel_hi:[1,1,0] neg_lo:[0,0,1] neg_hi:[0,0,1]
	v_mov_b32_e32 v2, v55
	v_pk_mul_f32 v[6:7], v[14:15], v[54:55] op_sel_hi:[1,0]
	v_mov_b32_e32 v1, v3
	v_pk_fma_f32 v[12:13], v[14:15], v[2:3], v[6:7] op_sel:[0,0,1] op_sel_hi:[1,1,0] neg_lo:[0,0,1] neg_hi:[0,0,1]
	v_pk_fma_f32 v[6:7], v[14:15], v[54:55], v[6:7] op_sel:[0,1,1] op_sel_hi:[1,1,0]
	v_mov_b32_e32 v14, v3
	v_mov_b32_e32 v13, v7
	;; [unrolled: 1-line block ×5, first 2 shown]
	v_pk_add_f32 v[2:3], v[14:15], v[6:7]
	v_pk_add_f32 v[0:1], v[0:1], v[12:13] neg_lo:[0,1] neg_hi:[0,1]
	v_pk_fma_f32 v[2:3], v[2:3], 0.5, v[58:59] op_sel_hi:[1,0,1] neg_lo:[1,0,0] neg_hi:[1,0,0]
	v_pk_mul_f32 v[12:13], v[8:9], v[4:5] op_sel_hi:[1,0]
	v_pk_fma_f32 v[54:55], v[0:1], s[2:3], v[2:3] op_sel_hi:[1,0,1]
	v_pk_fma_f32 v[2:3], v[0:1], s[2:3], v[2:3] op_sel_hi:[1,0,1] neg_lo:[1,0,0] neg_hi:[1,0,0]
	v_mov_b32_e32 v0, v5
	v_pk_fma_f32 v[4:5], v[8:9], v[4:5], v[12:13] op_sel:[0,1,1] op_sel_hi:[1,1,0]
	v_pk_fma_f32 v[0:1], v[8:9], v[0:1], v[12:13] op_sel:[0,0,1] op_sel_hi:[1,1,0] neg_lo:[0,0,1] neg_hi:[0,0,1]
	v_mov_b32_e32 v4, v57
	v_pk_mul_f32 v[8:9], v[10:11], v[56:57] op_sel_hi:[1,0]
	v_mov_b32_e32 v1, v5
	v_pk_fma_f32 v[12:13], v[10:11], v[4:5], v[8:9] op_sel:[0,0,1] op_sel_hi:[1,1,0] neg_lo:[0,0,1] neg_hi:[0,0,1]
	v_pk_fma_f32 v[8:9], v[10:11], v[56:57], v[8:9] op_sel:[0,1,1] op_sel_hi:[1,1,0]
	v_mov_b32_e32 v4, v5
	v_mov_b32_e32 v13, v9
	;; [unrolled: 1-line block ×5, first 2 shown]
	v_pk_add_f32 v[10:11], v[4:5], v[8:9]
	v_pk_add_f32 v[0:1], v[0:1], v[12:13] neg_lo:[0,1] neg_hi:[0,1]
	v_pk_fma_f32 v[56:57], v[10:11], 0.5, v[60:61] op_sel_hi:[1,0,1] neg_lo:[1,0,0] neg_hi:[1,0,0]
	v_pk_add_f32 v[4:5], v[60:61], v[4:5]
	v_pk_fma_f32 v[52:53], v[0:1], s[2:3], v[56:57] op_sel_hi:[1,0,1]
	v_pk_add_f32 v[10:11], v[4:5], v[8:9]
	v_pk_fma_f32 v[4:5], v[0:1], s[2:3], v[56:57] op_sel_hi:[1,0,1] neg_lo:[1,0,0] neg_hi:[1,0,0]
	v_pk_add_f32 v[0:1], v[58:59], v[14:15]
	s_barrier
	v_pk_add_f32 v[0:1], v[0:1], v[6:7]
	v_mov_b32_e32 v6, v2
	v_mov_b32_e32 v7, v55
	ds_write2_b64 v202, v[0:1], v[6:7] offset1:14
	v_mov_b32_e32 v6, v54
	v_mov_b32_e32 v7, v3
	ds_write_b64 v202, v[6:7] offset:224
	v_mov_b32_e32 v6, v4
	v_mov_b32_e32 v7, v53
	ds_write2_b64 v201, v[10:11], v[6:7] offset1:14
	v_mov_b32_e32 v6, v52
	v_mov_b32_e32 v7, v5
	ds_write_b64 v201, v[6:7] offset:224
	s_waitcnt lgkmcnt(0)
	s_barrier
	s_and_saveexec_b64 s[2:3], s[4:5]
	s_xor_b64 s[2:3], exec, s[2:3]
	s_andn2_saveexec_b64 s[2:3], s[2:3]
	s_cbranch_execz .LBB0_21
; %bb.20:
	v_add_u32_e32 v4, 0x400, v76
	ds_read2_b64 v[8:11], v4 offset0:124 offset1:250
	v_add_u32_e32 v4, 0xc00, v76
	v_add_u32_e32 v12, 0x1400, v76
	ds_read2_b64 v[0:3], v76 offset1:126
	ds_read2_b64 v[4:7], v4 offset0:120 offset1:246
	ds_read2_b64 v[48:51], v12 offset0:116 offset1:242
	v_add_u32_e32 v12, 0x1c00, v76
	ds_read2_b64 v[44:47], v12 offset0:112 offset1:238
	ds_read_b64 v[94:95], v76 offset:10080
	s_waitcnt lgkmcnt(5)
	v_mov_b32_e32 v54, v8
	s_waitcnt lgkmcnt(3)
	v_mov_b32_e32 v52, v6
	v_mov_b32_e32 v53, v5
	v_mov_b32_e32 v55, v3
	v_mov_b32_e32 v5, v7
	v_mov_b32_e32 v3, v9
.LBB0_21:
	s_or_b64 exec, exec, s[2:3]
	v_mov_b32_e32 v14, v40
	v_mov_b32_e32 v15, v40
	v_mov_b32_e32 v40, v41
	v_mov_b32_e32 v12, v42
	v_mov_b32_e32 v13, v42
	v_mov_b32_e32 v42, v43
	v_mov_b32_e32 v8, v36
	v_mov_b32_e32 v9, v36
	v_mov_b32_e32 v36, v37
	v_mov_b32_e32 v6, v38
	v_mov_b32_e32 v7, v38
	v_mov_b32_e32 v38, v39
	s_waitcnt lgkmcnt(0)
	s_barrier
	s_and_saveexec_b64 s[2:3], s[0:1]
	s_cbranch_execz .LBB0_23
; %bb.22:
	v_pk_mul_f32 v[56:57], v[34:35], v[94:95] op_sel:[0,1]
	v_pk_mul_f32 v[58:59], v[16:17], v[54:55] op_sel:[0,1]
	v_pk_mul_f32 v[54:55], v[18:19], v[54:55] op_sel_hi:[1,0]
	v_pk_fma_f32 v[92:93], v[34:35], v[94:95], v[56:57] op_sel:[0,0,1] op_sel_hi:[1,1,0]
	v_pk_fma_f32 v[34:35], v[34:35], v[94:95], v[56:57] op_sel:[0,0,1] op_sel_hi:[1,0,0] neg_lo:[1,0,0] neg_hi:[1,0,0]
	v_pk_mul_f32 v[60:61], v[32:33], v[46:47] op_sel:[0,1]
	v_mov_b32_e32 v93, v35
	v_pk_fma_f32 v[34:35], v[18:19], v[2:3], v[54:55] op_sel:[1,1,0] op_sel_hi:[0,1,1]
	v_pk_fma_f32 v[18:19], v[18:19], v[2:3], v[54:55] op_sel:[1,1,0] op_sel_hi:[0,1,1] neg_lo:[0,0,1] neg_hi:[0,0,1]
	v_pk_mul_f32 v[82:83], v[28:29], v[10:11] op_sel:[0,1]
	v_mov_b32_e32 v35, v19
	;; [unrolled: 4-line block ×4, first 2 shown]
	v_pk_fma_f32 v[10:11], v[26:27], v[44:45], v[62:63] op_sel:[0,0,1] op_sel_hi:[1,1,0]
	v_pk_fma_f32 v[26:27], v[26:27], v[44:45], v[62:63] op_sel:[0,0,1] op_sel_hi:[1,0,0] neg_lo:[1,0,0] neg_hi:[1,0,0]
	v_pk_mul_f32 v[84:85], v[24:25], v[50:51] op_sel:[0,1]
	v_pk_mul_f32 v[90:91], v[20:21], v[4:5] op_sel:[0,1]
	v_mov_b32_e32 v11, v27
	v_pk_fma_f32 v[26:27], v[30:31], v[4:5], v[86:87] op_sel:[0,0,1] op_sel_hi:[1,1,0]
	v_pk_fma_f32 v[4:5], v[30:31], v[4:5], v[86:87] op_sel:[0,0,1] op_sel_hi:[1,0,0] neg_lo:[1,0,0] neg_hi:[1,0,0]
	v_mov_b32_e32 v88, v49
	v_mov_b32_e32 v27, v5
	v_pk_fma_f32 v[4:5], v[24:25], v[50:51], v[84:85] op_sel:[0,0,1] op_sel_hi:[1,1,0]
	v_pk_fma_f32 v[24:25], v[24:25], v[50:51], v[84:85] op_sel:[0,0,1] op_sel_hi:[1,0,0] neg_lo:[1,0,0] neg_hi:[1,0,0]
	v_pk_mul_f32 v[88:89], v[22:23], v[88:89] op_sel_hi:[1,0]
	v_mul_u32_u24_e32 v49, 0x1ce, v203
	v_mov_b32_e32 v5, v25
	v_pk_fma_f32 v[24:25], v[20:21], v[52:53], v[90:91] op_sel:[0,0,1] op_sel_hi:[1,1,0]
	v_pk_fma_f32 v[20:21], v[20:21], v[52:53], v[90:91] op_sel:[0,0,1] op_sel_hi:[1,0,0] neg_lo:[1,0,0] neg_hi:[1,0,0]
	s_mov_b32 s18, 0xbf0a6770
	v_mov_b32_e32 v25, v21
	v_pk_fma_f32 v[20:21], v[22:23], v[48:49], v[88:89] op_sel:[0,0,1] op_sel_hi:[1,1,0]
	v_pk_fma_f32 v[22:23], v[22:23], v[48:49], v[88:89] op_sel:[0,0,1] op_sel_hi:[1,0,0] neg_lo:[1,0,0] neg_hi:[1,0,0]
	v_pk_add_f32 v[30:31], v[34:35], v[18:19] neg_lo:[0,1] neg_hi:[0,1]
	v_mov_b32_e32 v21, v23
	v_pk_fma_f32 v[22:23], v[16:17], v[2:3], v[58:59] op_sel:[0,0,1] op_sel_hi:[1,1,0]
	v_pk_fma_f32 v[2:3], v[16:17], v[2:3], v[58:59] op_sel:[0,0,1] op_sel_hi:[1,0,0] neg_lo:[1,0,0] neg_hi:[1,0,0]
	s_mov_b32 s4, 0x3f575c64
	v_mov_b32_e32 v23, v3
	v_pk_add_f32 v[16:17], v[22:23], v[92:93] neg_lo:[0,1] neg_hi:[0,1]
	v_pk_add_f32 v[2:3], v[92:93], v[22:23]
	v_pk_mul_f32 v[56:57], v[16:17], s[18:19] op_sel_hi:[1,0]
	s_mov_b32 s26, 0xbf68dda4
	v_pk_add_f32 v[28:29], v[18:19], v[34:35]
	v_pk_fma_f32 v[58:59], v[2:3], s[4:5], v[56:57] op_sel:[0,0,1] op_sel_hi:[1,0,0]
	v_pk_fma_f32 v[56:57], v[2:3], s[4:5], v[56:57] op_sel:[0,0,1] op_sel_hi:[1,0,0] neg_lo:[0,0,1] neg_hi:[0,0,1]
	s_mov_b32 s0, 0x3ed4b147
	v_pk_mul_f32 v[62:63], v[30:31], s[26:27] op_sel_hi:[1,0]
	v_mov_b32_e32 v60, v58
	v_mov_b32_e32 v61, v57
	v_pk_fma_f32 v[82:83], v[28:29], s[0:1], v[62:63] op_sel:[0,0,1] op_sel_hi:[1,0,0]
	v_pk_fma_f32 v[62:63], v[28:29], s[0:1], v[62:63] op_sel:[0,0,1] op_sel_hi:[1,0,0] neg_lo:[0,0,1] neg_hi:[0,0,1]
	v_pk_add_f32 v[46:47], v[32:33], v[10:11] neg_lo:[0,1] neg_hi:[0,1]
	v_pk_add_f32 v[60:61], v[0:1], v[60:61]
	v_mov_b32_e32 v84, v82
	v_mov_b32_e32 v85, v63
	s_mov_b32 s12, 0xbf7d64f0
	v_pk_add_f32 v[44:45], v[10:11], v[32:33]
	v_pk_add_f32 v[60:61], v[84:85], v[60:61]
	s_mov_b32 s6, 0xbe11bafb
	v_pk_mul_f32 v[84:85], v[46:47], s[12:13] op_sel_hi:[1,0]
	v_pk_add_f32 v[22:23], v[0:1], v[22:23]
	v_pk_fma_f32 v[86:87], v[44:45], s[6:7], v[84:85] op_sel:[0,0,1] op_sel_hi:[1,0,0]
	v_pk_fma_f32 v[84:85], v[44:45], s[6:7], v[84:85] op_sel:[0,0,1] op_sel_hi:[1,0,0] neg_lo:[0,0,1] neg_hi:[0,0,1]
	v_pk_add_f32 v[22:23], v[34:35], v[22:23]
	v_pk_add_f32 v[50:51], v[26:27], v[4:5] neg_lo:[0,1] neg_hi:[0,1]
	v_mov_b32_e32 v88, v86
	v_mov_b32_e32 v89, v85
	s_mov_b32 s20, 0xbf4178ce
	v_pk_add_f32 v[22:23], v[32:33], v[22:23]
	v_add_lshl_u32 v65, v49, v204, 3
	v_pk_add_f32 v[48:49], v[4:5], v[26:27]
	v_pk_add_f32 v[60:61], v[88:89], v[60:61]
	s_mov_b32 s14, 0xbf27a4f4
	v_pk_mul_f32 v[88:89], v[50:51], s[20:21] op_sel_hi:[1,0]
	v_pk_add_f32 v[22:23], v[26:27], v[22:23]
	v_pk_fma_f32 v[90:91], v[48:49], s[14:15], v[88:89] op_sel:[0,0,1] op_sel_hi:[1,0,0]
	v_pk_fma_f32 v[88:89], v[48:49], s[14:15], v[88:89] op_sel:[0,0,1] op_sel_hi:[1,0,0] neg_lo:[0,0,1] neg_hi:[0,0,1]
	v_pk_add_f32 v[22:23], v[24:25], v[22:23]
	v_pk_add_f32 v[52:53], v[20:21], v[24:25]
	v_pk_add_f32 v[54:55], v[24:25], v[20:21] neg_lo:[0,1] neg_hi:[0,1]
	v_mov_b32_e32 v94, v90
	v_mov_b32_e32 v95, v89
	s_mov_b32 s24, 0xbe903f40
	v_pk_add_f32 v[20:21], v[20:21], v[22:23]
	v_pk_add_f32 v[60:61], v[94:95], v[60:61]
	v_pk_mul_f32 v[94:95], v[54:55], s[24:25] op_sel_hi:[1,0]
	v_pk_add_f32 v[4:5], v[4:5], v[20:21]
	v_pk_fma_f32 v[96:97], v[52:53], s[22:23], v[94:95] op_sel:[0,0,1] op_sel_hi:[1,0,0]
	v_pk_fma_f32 v[94:95], v[52:53], s[22:23], v[94:95] op_sel:[0,0,1] op_sel_hi:[1,0,0] neg_lo:[0,0,1] neg_hi:[0,0,1]
	v_pk_add_f32 v[4:5], v[10:11], v[4:5]
	v_mov_b32_e32 v98, v96
	v_mov_b32_e32 v99, v95
	v_pk_add_f32 v[4:5], v[18:19], v[4:5]
	v_pk_add_f32 v[60:61], v[98:99], v[60:61]
	;; [unrolled: 1-line block ×3, first 2 shown]
	ds_write2_b64 v65, v[4:5], v[60:61] offset1:42
	v_pk_mul_f32 v[4:5], v[16:17], s[26:27] op_sel_hi:[1,0]
	v_pk_mul_f32 v[20:21], v[30:31], s[20:21] op_sel_hi:[1,0]
	v_pk_fma_f32 v[10:11], v[2:3], s[0:1], v[4:5] op_sel:[0,0,1] op_sel_hi:[1,0,0]
	v_pk_fma_f32 v[4:5], v[2:3], s[0:1], v[4:5] op_sel:[0,0,1] op_sel_hi:[1,0,0] neg_lo:[0,0,1] neg_hi:[0,0,1]
	v_mov_b32_e32 v18, v10
	v_mov_b32_e32 v19, v5
	v_pk_fma_f32 v[22:23], v[28:29], s[14:15], v[20:21] op_sel:[0,0,1] op_sel_hi:[1,0,0]
	v_pk_fma_f32 v[20:21], v[28:29], s[14:15], v[20:21] op_sel:[0,0,1] op_sel_hi:[1,0,0] neg_lo:[0,0,1] neg_hi:[0,0,1]
	v_pk_add_f32 v[18:19], v[0:1], v[18:19]
	v_mov_b32_e32 v24, v22
	v_mov_b32_e32 v25, v21
	s_mov_b32 s26, 0x3e903f40
	v_pk_add_f32 v[18:19], v[24:25], v[18:19]
	v_pk_mul_f32 v[24:25], v[46:47], s[26:27] op_sel_hi:[1,0]
	s_mov_b32 s28, 0x3f7d64f0
	v_pk_fma_f32 v[26:27], v[44:45], s[22:23], v[24:25] op_sel:[0,0,1] op_sel_hi:[1,0,0]
	v_pk_fma_f32 v[24:25], v[44:45], s[22:23], v[24:25] op_sel:[0,0,1] op_sel_hi:[1,0,0] neg_lo:[0,0,1] neg_hi:[0,0,1]
	v_mov_b32_e32 v32, v26
	v_mov_b32_e32 v33, v25
	v_pk_add_f32 v[18:19], v[32:33], v[18:19]
	v_pk_mul_f32 v[32:33], v[50:51], s[28:29] op_sel_hi:[1,0]
	s_mov_b32 s30, 0x3f0a6770
	v_pk_fma_f32 v[34:35], v[48:49], s[6:7], v[32:33] op_sel:[0,0,1] op_sel_hi:[1,0,0]
	v_pk_fma_f32 v[32:33], v[48:49], s[6:7], v[32:33] op_sel:[0,0,1] op_sel_hi:[1,0,0] neg_lo:[0,0,1] neg_hi:[0,0,1]
	v_mov_b32_e32 v60, v34
	v_mov_b32_e32 v61, v33
	v_pk_add_f32 v[18:19], v[60:61], v[18:19]
	v_pk_mul_f32 v[60:61], v[54:55], s[30:31] op_sel_hi:[1,0]
	v_pk_mul_f32 v[104:105], v[30:31], s[26:27] op_sel_hi:[1,0]
	v_pk_fma_f32 v[92:93], v[52:53], s[4:5], v[60:61] op_sel:[0,0,1] op_sel_hi:[1,0,0]
	v_pk_fma_f32 v[60:61], v[52:53], s[4:5], v[60:61] op_sel:[0,0,1] op_sel_hi:[1,0,0] neg_lo:[0,0,1] neg_hi:[0,0,1]
	v_mov_b32_e32 v98, v92
	v_mov_b32_e32 v99, v61
	v_pk_add_f32 v[18:19], v[98:99], v[18:19]
	v_pk_mul_f32 v[98:99], v[16:17], s[12:13] op_sel_hi:[1,0]
	v_pk_fma_f32 v[106:107], v[28:29], s[22:23], v[104:105] op_sel:[0,0,1] op_sel_hi:[1,0,0]
	v_pk_fma_f32 v[100:101], v[2:3], s[6:7], v[98:99] op_sel:[0,0,1] op_sel_hi:[1,0,0]
	v_pk_fma_f32 v[98:99], v[2:3], s[6:7], v[98:99] op_sel:[0,0,1] op_sel_hi:[1,0,0] neg_lo:[0,0,1] neg_hi:[0,0,1]
	v_mov_b32_e32 v102, v100
	v_mov_b32_e32 v103, v99
	v_pk_fma_f32 v[104:105], v[28:29], s[22:23], v[104:105] op_sel:[0,0,1] op_sel_hi:[1,0,0] neg_lo:[0,0,1] neg_hi:[0,0,1]
	v_pk_add_f32 v[102:103], v[0:1], v[102:103]
	v_mov_b32_e32 v108, v106
	v_mov_b32_e32 v109, v105
	s_mov_b32 s26, 0x3f68dda4
	v_pk_add_f32 v[102:103], v[108:109], v[102:103]
	v_pk_mul_f32 v[108:109], v[46:47], s[26:27] op_sel_hi:[1,0]
	v_pk_mul_f32 v[122:123], v[30:31], s[28:29] op_sel_hi:[1,0]
	v_pk_fma_f32 v[110:111], v[44:45], s[0:1], v[108:109] op_sel:[0,0,1] op_sel_hi:[1,0,0]
	v_pk_fma_f32 v[108:109], v[44:45], s[0:1], v[108:109] op_sel:[0,0,1] op_sel_hi:[1,0,0] neg_lo:[0,0,1] neg_hi:[0,0,1]
	v_mov_b32_e32 v112, v110
	v_mov_b32_e32 v113, v109
	v_pk_add_f32 v[102:103], v[112:113], v[102:103]
	v_pk_mul_f32 v[112:113], v[50:51], s[18:19] op_sel_hi:[1,0]
	v_pk_fma_f32 v[124:125], v[28:29], s[6:7], v[122:123] op_sel:[0,0,1] op_sel_hi:[1,0,0]
	v_pk_fma_f32 v[114:115], v[48:49], s[4:5], v[112:113] op_sel:[0,0,1] op_sel_hi:[1,0,0]
	v_pk_fma_f32 v[112:113], v[48:49], s[4:5], v[112:113] op_sel:[0,0,1] op_sel_hi:[1,0,0] neg_lo:[0,0,1] neg_hi:[0,0,1]
	v_mov_b32_e32 v116, v114
	v_mov_b32_e32 v117, v113
	v_pk_add_f32 v[102:103], v[116:117], v[102:103]
	v_pk_mul_f32 v[116:117], v[54:55], s[20:21] op_sel_hi:[1,0]
	v_pk_fma_f32 v[122:123], v[28:29], s[6:7], v[122:123] op_sel:[0,0,1] op_sel_hi:[1,0,0] neg_lo:[0,0,1] neg_hi:[0,0,1]
	v_pk_fma_f32 v[118:119], v[52:53], s[14:15], v[116:117] op_sel:[0,0,1] op_sel_hi:[1,0,0]
	v_pk_fma_f32 v[116:117], v[52:53], s[14:15], v[116:117] op_sel:[0,0,1] op_sel_hi:[1,0,0] neg_lo:[0,0,1] neg_hi:[0,0,1]
	v_mov_b32_e32 v120, v118
	v_mov_b32_e32 v121, v117
	v_pk_add_f32 v[102:103], v[120:121], v[102:103]
	ds_write2_b64 v65, v[18:19], v[102:103] offset0:84 offset1:126
	v_pk_mul_f32 v[18:19], v[16:17], s[20:21] op_sel_hi:[1,0]
	v_mov_b32_e32 v126, v124
	v_pk_fma_f32 v[102:103], v[2:3], s[14:15], v[18:19] op_sel:[0,0,1] op_sel_hi:[1,0,0]
	v_pk_fma_f32 v[18:19], v[2:3], s[14:15], v[18:19] op_sel:[0,0,1] op_sel_hi:[1,0,0] neg_lo:[0,0,1] neg_hi:[0,0,1]
	v_mov_b32_e32 v120, v102
	v_mov_b32_e32 v121, v19
	v_pk_add_f32 v[120:121], v[0:1], v[120:121]
	v_mov_b32_e32 v127, v123
	v_pk_add_f32 v[120:121], v[126:127], v[120:121]
	v_pk_mul_f32 v[126:127], v[46:47], s[18:19] op_sel_hi:[1,0]
	v_pk_mul_f32 v[16:17], v[16:17], s[24:25] op_sel_hi:[1,0]
	v_pk_fma_f32 v[128:129], v[44:45], s[4:5], v[126:127] op_sel:[0,0,1] op_sel_hi:[1,0,0]
	v_pk_fma_f32 v[126:127], v[44:45], s[4:5], v[126:127] op_sel:[0,0,1] op_sel_hi:[1,0,0] neg_lo:[0,0,1] neg_hi:[0,0,1]
	v_mov_b32_e32 v130, v128
	v_mov_b32_e32 v131, v127
	v_pk_add_f32 v[120:121], v[130:131], v[120:121]
	v_pk_mul_f32 v[130:131], v[50:51], s[24:25] op_sel_hi:[1,0]
	v_pk_mul_f32 v[30:31], v[30:31], s[30:31] op_sel_hi:[1,0]
	v_pk_fma_f32 v[132:133], v[48:49], s[22:23], v[130:131] op_sel:[0,0,1] op_sel_hi:[1,0,0]
	v_pk_fma_f32 v[130:131], v[48:49], s[22:23], v[130:131] op_sel:[0,0,1] op_sel_hi:[1,0,0] neg_lo:[0,0,1] neg_hi:[0,0,1]
	v_mov_b32_e32 v134, v132
	v_mov_b32_e32 v135, v131
	v_pk_add_f32 v[120:121], v[134:135], v[120:121]
	v_pk_mul_f32 v[134:135], v[54:55], s[26:27] op_sel_hi:[1,0]
	v_pk_fma_f32 v[140:141], v[28:29], s[4:5], v[30:31] op_sel:[0,0,1] op_sel_hi:[1,0,0]
	v_pk_fma_f32 v[136:137], v[52:53], s[0:1], v[134:135] op_sel:[0,0,1] op_sel_hi:[1,0,0]
	v_pk_fma_f32 v[134:135], v[52:53], s[0:1], v[134:135] op_sel:[0,0,1] op_sel_hi:[1,0,0] neg_lo:[0,0,1] neg_hi:[0,0,1]
	v_mov_b32_e32 v138, v136
	v_mov_b32_e32 v139, v135
	v_pk_add_f32 v[120:121], v[138:139], v[120:121]
	v_pk_fma_f32 v[138:139], v[2:3], s[22:23], v[16:17] op_sel:[0,0,1] op_sel_hi:[1,0,0]
	v_pk_fma_f32 v[2:3], v[2:3], s[22:23], v[16:17] op_sel:[0,0,1] op_sel_hi:[1,0,0] neg_lo:[0,0,1] neg_hi:[0,0,1]
	v_mov_b32_e32 v16, v138
	v_mov_b32_e32 v17, v3
	v_pk_fma_f32 v[28:29], v[28:29], s[4:5], v[30:31] op_sel:[0,0,1] op_sel_hi:[1,0,0] neg_lo:[0,0,1] neg_hi:[0,0,1]
	v_pk_add_f32 v[16:17], v[0:1], v[16:17]
	v_mov_b32_e32 v30, v140
	v_mov_b32_e32 v31, v29
	v_pk_add_f32 v[16:17], v[30:31], v[16:17]
	v_pk_mul_f32 v[30:31], v[46:47], s[20:21] op_sel_hi:[1,0]
	v_mov_b32_e32 v3, v139
	v_pk_fma_f32 v[46:47], v[44:45], s[14:15], v[30:31] op_sel:[0,0,1] op_sel_hi:[1,0,0]
	v_pk_fma_f32 v[30:31], v[44:45], s[14:15], v[30:31] op_sel:[0,0,1] op_sel_hi:[1,0,0] neg_lo:[0,0,1] neg_hi:[0,0,1]
	v_mov_b32_e32 v44, v46
	v_mov_b32_e32 v45, v31
	v_pk_add_f32 v[16:17], v[44:45], v[16:17]
	v_pk_mul_f32 v[44:45], v[50:51], s[26:27] op_sel_hi:[1,0]
	v_mov_b32_e32 v19, v103
	v_pk_fma_f32 v[50:51], v[48:49], s[0:1], v[44:45] op_sel:[0,0,1] op_sel_hi:[1,0,0]
	v_pk_fma_f32 v[44:45], v[48:49], s[0:1], v[44:45] op_sel:[0,0,1] op_sel_hi:[1,0,0] neg_lo:[0,0,1] neg_hi:[0,0,1]
	v_mov_b32_e32 v48, v50
	v_mov_b32_e32 v49, v45
	v_pk_add_f32 v[16:17], v[48:49], v[16:17]
	v_pk_mul_f32 v[48:49], v[54:55], s[12:13] op_sel_hi:[1,0]
	v_pk_add_f32 v[2:3], v[0:1], v[2:3]
	v_pk_fma_f32 v[54:55], v[52:53], s[6:7], v[48:49] op_sel:[0,0,1] op_sel_hi:[1,0,0]
	v_pk_fma_f32 v[48:49], v[52:53], s[6:7], v[48:49] op_sel:[0,0,1] op_sel_hi:[1,0,0] neg_lo:[0,0,1] neg_hi:[0,0,1]
	v_mov_b32_e32 v52, v54
	v_mov_b32_e32 v53, v49
	v_pk_add_f32 v[16:17], v[52:53], v[16:17]
	ds_write2_b64 v65, v[120:121], v[16:17] offset0:168 offset1:210
	v_mov_b32_e32 v29, v141
	v_pk_add_f32 v[16:17], v[0:1], v[18:19]
	v_mov_b32_e32 v123, v125
	v_pk_add_f32 v[2:3], v[28:29], v[2:3]
	v_mov_b32_e32 v31, v47
	v_pk_add_f32 v[16:17], v[122:123], v[16:17]
	v_mov_b32_e32 v127, v129
	v_pk_add_f32 v[2:3], v[30:31], v[2:3]
	v_mov_b32_e32 v45, v51
	v_pk_add_f32 v[16:17], v[126:127], v[16:17]
	v_mov_b32_e32 v131, v133
	v_pk_add_f32 v[2:3], v[44:45], v[2:3]
	v_mov_b32_e32 v49, v55
	v_pk_add_f32 v[16:17], v[130:131], v[16:17]
	v_mov_b32_e32 v135, v137
	v_pk_add_f32 v[2:3], v[48:49], v[2:3]
	v_pk_add_f32 v[16:17], v[134:135], v[16:17]
	v_add_u32_e32 v5, 0x400, v65
	ds_write2_b64 v5, v[2:3], v[16:17] offset0:124 offset1:166
	v_mov_b32_e32 v99, v101
	v_mov_b32_e32 v5, v11
	;; [unrolled: 1-line block ×3, first 2 shown]
	v_pk_add_f32 v[2:3], v[0:1], v[98:99]
	v_mov_b32_e32 v105, v107
	v_pk_add_f32 v[4:5], v[0:1], v[4:5]
	v_mov_b32_e32 v21, v23
	v_pk_add_f32 v[0:1], v[0:1], v[56:57]
	v_mov_b32_e32 v63, v83
	v_pk_add_f32 v[2:3], v[104:105], v[2:3]
	v_mov_b32_e32 v109, v111
	v_pk_add_f32 v[4:5], v[20:21], v[4:5]
	v_mov_b32_e32 v25, v27
	v_pk_add_f32 v[0:1], v[62:63], v[0:1]
	v_mov_b32_e32 v85, v87
	v_pk_add_f32 v[2:3], v[108:109], v[2:3]
	v_mov_b32_e32 v113, v115
	v_pk_add_f32 v[4:5], v[24:25], v[4:5]
	v_mov_b32_e32 v33, v35
	v_pk_add_f32 v[0:1], v[84:85], v[0:1]
	v_mov_b32_e32 v89, v91
	v_pk_add_f32 v[2:3], v[112:113], v[2:3]
	v_mov_b32_e32 v117, v119
	v_pk_add_f32 v[4:5], v[32:33], v[4:5]
	v_mov_b32_e32 v61, v93
	v_pk_add_f32 v[0:1], v[88:89], v[0:1]
	v_mov_b32_e32 v95, v97
	v_pk_add_f32 v[2:3], v[116:117], v[2:3]
	v_pk_add_f32 v[4:5], v[60:61], v[4:5]
	v_add_u32_e32 v10, 0x800, v65
	v_pk_add_f32 v[0:1], v[94:95], v[0:1]
	ds_write2_b64 v10, v[2:3], v[4:5] offset0:80 offset1:122
	ds_write_b64 v65, v[0:1] offset:3360
.LBB0_23:
	s_or_b64 exec, exec, s[2:3]
	v_add_u32_e32 v28, 0xe00, v76
	s_waitcnt lgkmcnt(0)
	s_barrier
	ds_read2_b64 v[0:3], v28 offset0:14 offset1:245
	v_add_u32_e32 v29, 0x1c80, v76
	ds_read2_b64 v[20:23], v29 offset0:12 offset1:243
	ds_read2_b64 v[16:19], v76 offset1:231
	v_mad_u64_u32 v[24:25], s[0:1], s10, v66, 0
	s_waitcnt lgkmcnt(2)
	v_pk_mul_f32 v[4:5], v[40:41], v[0:1]
	s_mov_b32 s0, 0x3f5db3d7
	v_pk_fma_f32 v[26:27], v[14:15], v[0:1], v[4:5] op_sel:[0,0,1] op_sel_hi:[1,1,0]
	v_pk_fma_f32 v[0:1], v[14:15], v[0:1], v[4:5] op_sel:[0,0,1] op_sel_hi:[1,1,0] neg_lo:[0,0,1] neg_hi:[0,0,1]
	v_mov_b32_e32 v10, s16
	v_mov_b32_e32 v27, v1
	s_waitcnt lgkmcnt(1)
	v_pk_mul_f32 v[0:1], v[42:43], v[20:21]
	v_mov_b32_e32 v11, s17
	v_pk_fma_f32 v[4:5], v[12:13], v[20:21], v[0:1] op_sel:[0,0,1] op_sel_hi:[1,1,0]
	v_pk_fma_f32 v[0:1], v[12:13], v[20:21], v[0:1] op_sel:[0,0,1] op_sel_hi:[1,1,0] neg_lo:[0,0,1] neg_hi:[0,0,1]
	v_pk_mul_f32 v[12:13], v[36:37], v[2:3]
	v_mov_b32_e32 v5, v1
	v_pk_fma_f32 v[14:15], v[8:9], v[2:3], v[12:13] op_sel:[0,0,1] op_sel_hi:[1,1,0]
	v_pk_fma_f32 v[2:3], v[8:9], v[2:3], v[12:13] op_sel:[0,0,1] op_sel_hi:[1,1,0] neg_lo:[0,0,1] neg_hi:[0,0,1]
	s_waitcnt lgkmcnt(0)
	v_pk_add_f32 v[0:1], v[16:17], v[26:27]
	v_mov_b32_e32 v15, v3
	v_pk_mul_f32 v[2:3], v[38:39], v[22:23]
	v_pk_add_f32 v[0:1], v[0:1], v[4:5]
	v_pk_fma_f32 v[8:9], v[6:7], v[22:23], v[2:3] op_sel:[0,0,1] op_sel_hi:[1,1,0]
	v_pk_fma_f32 v[2:3], v[6:7], v[22:23], v[2:3] op_sel:[0,0,1] op_sel_hi:[1,1,0] neg_lo:[0,0,1] neg_hi:[0,0,1]
	v_pk_add_f32 v[6:7], v[26:27], v[4:5]
	v_pk_add_f32 v[4:5], v[26:27], v[4:5] neg_lo:[0,1] neg_hi:[0,1]
	v_pk_fma_f32 v[6:7], v[6:7], 0.5, v[16:17] op_sel_hi:[1,0,1] neg_lo:[1,0,0] neg_hi:[1,0,0]
	v_pk_mul_f32 v[4:5], v[4:5], s[0:1] op_sel_hi:[1,0]
	v_mov_b32_e32 v9, v3
	v_pk_add_f32 v[2:3], v[18:19], v[14:15]
	v_pk_add_f32 v[12:13], v[6:7], v[4:5] op_sel:[0,1] op_sel_hi:[1,0] neg_lo:[0,1] neg_hi:[0,1]
	v_pk_add_f32 v[4:5], v[6:7], v[4:5] op_sel:[0,1] op_sel_hi:[1,0]
	v_pk_add_f32 v[2:3], v[2:3], v[8:9]
	v_mov_b32_e32 v6, v12
	v_mov_b32_e32 v7, v5
	;; [unrolled: 1-line block ×3, first 2 shown]
	ds_write_b64 v76, v[6:7] offset:3696
	ds_write_b64 v76, v[4:5] offset:7392
	ds_write2_b64 v76, v[0:1], v[2:3] offset1:231
	v_pk_add_f32 v[0:1], v[14:15], v[8:9]
	v_pk_add_f32 v[2:3], v[14:15], v[8:9] neg_lo:[0,1] neg_hi:[0,1]
	v_pk_fma_f32 v[0:1], v[0:1], 0.5, v[18:19] op_sel_hi:[1,0,1] neg_lo:[1,0,0] neg_hi:[1,0,0]
	v_pk_mul_f32 v[2:3], v[2:3], s[0:1] op_sel_hi:[1,0]
	s_mul_i32 s4, s9, 0x15a8
	v_pk_add_f32 v[4:5], v[0:1], v[2:3] op_sel:[0,1] op_sel_hi:[1,0] neg_lo:[0,1] neg_hi:[0,1]
	v_pk_add_f32 v[0:1], v[0:1], v[2:3] op_sel:[0,1] op_sel_hi:[1,0]
	v_mov_b32_e32 v2, v4
	v_mov_b32_e32 v3, v1
	;; [unrolled: 1-line block ×3, first 2 shown]
	ds_write_b64 v76, v[2:3] offset:5544
	ds_write_b64 v76, v[0:1] offset:9240
	s_waitcnt lgkmcnt(0)
	s_barrier
	ds_read2_b64 v[0:3], v76 offset1:231
	v_mov_b32_e32 v4, v25
	v_mad_u64_u32 v[4:5], s[0:1], s11, v66, v[4:5]
	v_mov_b32_e32 v25, v4
	s_waitcnt lgkmcnt(0)
	v_mul_f32_e32 v4, v81, v1
	v_fmac_f32_e32 v4, v80, v0
	v_mul_f32_e32 v0, v81, v0
	s_mov_b32 s0, 0x5e918c
	v_fma_f32 v0, v80, v1, -v0
	s_mov_b32 s1, 0x3f47a463
	v_cvt_f64_f32_e32 v[0:1], v0
	v_cvt_f64_f32_e32 v[4:5], v4
	v_mul_f64 v[0:1], v[0:1], s[0:1]
	v_mul_f64 v[4:5], v[4:5], s[0:1]
	v_cvt_f32_f64_e32 v9, v[0:1]
	v_mad_u64_u32 v[0:1], s[2:3], s8, v64, 0
	v_cvt_f32_f64_e32 v8, v[4:5]
	v_mov_b32_e32 v4, v1
	v_mad_u64_u32 v[12:13], s[2:3], s9, v64, v[4:5]
	ds_read2_b64 v[4:7], v28 offset0:14 offset1:245
	v_mov_b32_e32 v1, v12
	v_lshl_add_u64 v[10:11], v[24:25], 3, v[10:11]
	v_lshl_add_u64 v[0:1], v[0:1], 3, v[10:11]
	global_store_dwordx2 v[0:1], v[8:9], off
	s_waitcnt lgkmcnt(0)
	v_mul_f32_e32 v8, v79, v7
	v_fmac_f32_e32 v8, v78, v6
	v_mul_f32_e32 v6, v79, v6
	v_fma_f32 v6, v78, v7, -v6
	v_cvt_f64_f32_e32 v[8:9], v8
	v_cvt_f64_f32_e32 v[6:7], v6
	v_mul_f64 v[8:9], v[8:9], s[0:1]
	v_mul_f64 v[6:7], v[6:7], s[0:1]
	v_cvt_f32_f64_e32 v8, v[8:9]
	v_cvt_f32_f64_e32 v9, v[6:7]
	v_mul_f32_e32 v6, v75, v3
	v_fmac_f32_e32 v6, v74, v2
	v_mul_f32_e32 v2, v75, v2
	v_mov_b32_e32 v10, 0x15a8
	v_fma_f32 v2, v74, v3, -v2
	v_mad_u64_u32 v[0:1], s[2:3], s8, v10, v[0:1]
	v_cvt_f64_f32_e32 v[6:7], v6
	v_cvt_f64_f32_e32 v[2:3], v2
	v_add_u32_e32 v1, s4, v1
	v_mul_f64 v[6:7], v[6:7], s[0:1]
	v_mul_f64 v[2:3], v[2:3], s[0:1]
	v_mov_b32_e32 v11, 0xfffff190
	global_store_dwordx2 v[0:1], v[8:9], off
	v_cvt_f32_f64_e32 v6, v[6:7]
	v_cvt_f32_f64_e32 v7, v[2:3]
	v_mad_u64_u32 v[8:9], s[2:3], s8, v11, v[0:1]
	ds_read2_b64 v[0:3], v29 offset0:12 offset1:243
	s_mul_i32 s2, s9, 0xfffff190
	s_sub_i32 s5, s2, s8
	v_add_u32_e32 v9, s5, v9
	global_store_dwordx2 v[8:9], v[6:7], off
	s_waitcnt lgkmcnt(0)
	v_mul_f32_e32 v6, v71, v1
	v_fmac_f32_e32 v6, v70, v0
	v_mul_f32_e32 v0, v71, v0
	v_fma_f32 v0, v70, v1, -v0
	v_cvt_f64_f32_e32 v[6:7], v6
	v_cvt_f64_f32_e32 v[0:1], v0
	v_mul_f64 v[6:7], v[6:7], s[0:1]
	v_mul_f64 v[0:1], v[0:1], s[0:1]
	v_cvt_f32_f64_e32 v6, v[6:7]
	v_cvt_f32_f64_e32 v7, v[0:1]
	v_mad_u64_u32 v[0:1], s[2:3], s8, v10, v[8:9]
	v_add_u32_e32 v1, s4, v1
	global_store_dwordx2 v[0:1], v[6:7], off
	v_mul_f32_e32 v6, v69, v5
	v_fmac_f32_e32 v6, v68, v4
	v_mul_f32_e32 v4, v69, v4
	v_fma_f32 v4, v68, v5, -v4
	v_cvt_f64_f32_e32 v[6:7], v6
	v_cvt_f64_f32_e32 v[4:5], v4
	v_mul_f64 v[6:7], v[6:7], s[0:1]
	v_mul_f64 v[4:5], v[4:5], s[0:1]
	v_cvt_f32_f64_e32 v6, v[6:7]
	v_cvt_f32_f64_e32 v7, v[4:5]
	v_mul_f32_e32 v4, v73, v3
	v_fmac_f32_e32 v4, v72, v2
	v_mul_f32_e32 v2, v73, v2
	v_mad_u64_u32 v[0:1], s[2:3], s8, v11, v[0:1]
	v_fma_f32 v2, v72, v3, -v2
	v_add_u32_e32 v1, s5, v1
	v_cvt_f64_f32_e32 v[4:5], v4
	v_cvt_f64_f32_e32 v[2:3], v2
	global_store_dwordx2 v[0:1], v[6:7], off
	v_mul_f64 v[4:5], v[4:5], s[0:1]
	v_mul_f64 v[2:3], v[2:3], s[0:1]
	v_mad_u64_u32 v[0:1], s[0:1], s8, v10, v[0:1]
	v_cvt_f32_f64_e32 v4, v[4:5]
	v_cvt_f32_f64_e32 v5, v[2:3]
	v_add_u32_e32 v1, s4, v1
	global_store_dwordx2 v[0:1], v[4:5], off
.LBB0_24:
	s_endpgm
	.section	.rodata,"a",@progbits
	.p2align	6, 0x0
	.amdhsa_kernel bluestein_single_back_len1386_dim1_sp_op_CI_CI
		.amdhsa_group_segment_fixed_size 11088
		.amdhsa_private_segment_fixed_size 0
		.amdhsa_kernarg_size 104
		.amdhsa_user_sgpr_count 2
		.amdhsa_user_sgpr_dispatch_ptr 0
		.amdhsa_user_sgpr_queue_ptr 0
		.amdhsa_user_sgpr_kernarg_segment_ptr 1
		.amdhsa_user_sgpr_dispatch_id 0
		.amdhsa_user_sgpr_kernarg_preload_length 0
		.amdhsa_user_sgpr_kernarg_preload_offset 0
		.amdhsa_user_sgpr_private_segment_size 0
		.amdhsa_uses_dynamic_stack 0
		.amdhsa_enable_private_segment 0
		.amdhsa_system_sgpr_workgroup_id_x 1
		.amdhsa_system_sgpr_workgroup_id_y 0
		.amdhsa_system_sgpr_workgroup_id_z 0
		.amdhsa_system_sgpr_workgroup_info 0
		.amdhsa_system_vgpr_workitem_id 0
		.amdhsa_next_free_vgpr 208
		.amdhsa_next_free_sgpr 42
		.amdhsa_accum_offset 208
		.amdhsa_reserve_vcc 1
		.amdhsa_float_round_mode_32 0
		.amdhsa_float_round_mode_16_64 0
		.amdhsa_float_denorm_mode_32 3
		.amdhsa_float_denorm_mode_16_64 3
		.amdhsa_dx10_clamp 1
		.amdhsa_ieee_mode 1
		.amdhsa_fp16_overflow 0
		.amdhsa_tg_split 0
		.amdhsa_exception_fp_ieee_invalid_op 0
		.amdhsa_exception_fp_denorm_src 0
		.amdhsa_exception_fp_ieee_div_zero 0
		.amdhsa_exception_fp_ieee_overflow 0
		.amdhsa_exception_fp_ieee_underflow 0
		.amdhsa_exception_fp_ieee_inexact 0
		.amdhsa_exception_int_div_zero 0
	.end_amdhsa_kernel
	.text
.Lfunc_end0:
	.size	bluestein_single_back_len1386_dim1_sp_op_CI_CI, .Lfunc_end0-bluestein_single_back_len1386_dim1_sp_op_CI_CI
                                        ; -- End function
	.section	.AMDGPU.csdata,"",@progbits
; Kernel info:
; codeLenInByte = 10096
; NumSgprs: 48
; NumVgprs: 208
; NumAgprs: 0
; TotalNumVgprs: 208
; ScratchSize: 0
; MemoryBound: 0
; FloatMode: 240
; IeeeMode: 1
; LDSByteSize: 11088 bytes/workgroup (compile time only)
; SGPRBlocks: 5
; VGPRBlocks: 25
; NumSGPRsForWavesPerEU: 48
; NumVGPRsForWavesPerEU: 208
; AccumOffset: 208
; Occupancy: 2
; WaveLimiterHint : 1
; COMPUTE_PGM_RSRC2:SCRATCH_EN: 0
; COMPUTE_PGM_RSRC2:USER_SGPR: 2
; COMPUTE_PGM_RSRC2:TRAP_HANDLER: 0
; COMPUTE_PGM_RSRC2:TGID_X_EN: 1
; COMPUTE_PGM_RSRC2:TGID_Y_EN: 0
; COMPUTE_PGM_RSRC2:TGID_Z_EN: 0
; COMPUTE_PGM_RSRC2:TIDIG_COMP_CNT: 0
; COMPUTE_PGM_RSRC3_GFX90A:ACCUM_OFFSET: 51
; COMPUTE_PGM_RSRC3_GFX90A:TG_SPLIT: 0
	.text
	.p2alignl 6, 3212836864
	.fill 256, 4, 3212836864
	.type	__hip_cuid_758fc7f0187426ae,@object ; @__hip_cuid_758fc7f0187426ae
	.section	.bss,"aw",@nobits
	.globl	__hip_cuid_758fc7f0187426ae
__hip_cuid_758fc7f0187426ae:
	.byte	0                               ; 0x0
	.size	__hip_cuid_758fc7f0187426ae, 1

	.ident	"AMD clang version 19.0.0git (https://github.com/RadeonOpenCompute/llvm-project roc-6.4.0 25133 c7fe45cf4b819c5991fe208aaa96edf142730f1d)"
	.section	".note.GNU-stack","",@progbits
	.addrsig
	.addrsig_sym __hip_cuid_758fc7f0187426ae
	.amdgpu_metadata
---
amdhsa.kernels:
  - .agpr_count:     0
    .args:
      - .actual_access:  read_only
        .address_space:  global
        .offset:         0
        .size:           8
        .value_kind:     global_buffer
      - .actual_access:  read_only
        .address_space:  global
        .offset:         8
        .size:           8
        .value_kind:     global_buffer
      - .actual_access:  read_only
        .address_space:  global
        .offset:         16
        .size:           8
        .value_kind:     global_buffer
      - .actual_access:  read_only
        .address_space:  global
        .offset:         24
        .size:           8
        .value_kind:     global_buffer
      - .actual_access:  read_only
        .address_space:  global
        .offset:         32
        .size:           8
        .value_kind:     global_buffer
      - .offset:         40
        .size:           8
        .value_kind:     by_value
      - .address_space:  global
        .offset:         48
        .size:           8
        .value_kind:     global_buffer
      - .address_space:  global
        .offset:         56
        .size:           8
        .value_kind:     global_buffer
      - .address_space:  global
        .offset:         64
        .size:           8
        .value_kind:     global_buffer
      - .address_space:  global
        .offset:         72
        .size:           8
        .value_kind:     global_buffer
      - .offset:         80
        .size:           4
        .value_kind:     by_value
      - .address_space:  global
        .offset:         88
        .size:           8
        .value_kind:     global_buffer
      - .address_space:  global
        .offset:         96
        .size:           8
        .value_kind:     global_buffer
    .group_segment_fixed_size: 11088
    .kernarg_segment_align: 8
    .kernarg_segment_size: 104
    .language:       OpenCL C
    .language_version:
      - 2
      - 0
    .max_flat_workgroup_size: 231
    .name:           bluestein_single_back_len1386_dim1_sp_op_CI_CI
    .private_segment_fixed_size: 0
    .sgpr_count:     48
    .sgpr_spill_count: 0
    .symbol:         bluestein_single_back_len1386_dim1_sp_op_CI_CI.kd
    .uniform_work_group_size: 1
    .uses_dynamic_stack: false
    .vgpr_count:     208
    .vgpr_spill_count: 0
    .wavefront_size: 64
amdhsa.target:   amdgcn-amd-amdhsa--gfx950
amdhsa.version:
  - 1
  - 2
...

	.end_amdgpu_metadata
